;; amdgpu-corpus repo=ROCm/rocFFT kind=compiled arch=gfx1201 opt=O3
	.text
	.amdgcn_target "amdgcn-amd-amdhsa--gfx1201"
	.amdhsa_code_object_version 6
	.protected	bluestein_single_fwd_len390_dim1_dp_op_CI_CI ; -- Begin function bluestein_single_fwd_len390_dim1_dp_op_CI_CI
	.globl	bluestein_single_fwd_len390_dim1_dp_op_CI_CI
	.p2align	8
	.type	bluestein_single_fwd_len390_dim1_dp_op_CI_CI,@function
bluestein_single_fwd_len390_dim1_dp_op_CI_CI: ; @bluestein_single_fwd_len390_dim1_dp_op_CI_CI
; %bb.0:
	s_load_b128 s[8:11], s[0:1], 0x28
	v_mul_u32_u24_e32 v1, 0x691, v0
	s_mov_b32 s2, exec_lo
	s_delay_alu instid0(VALU_DEP_1) | instskip(NEXT) | instid1(VALU_DEP_1)
	v_lshrrev_b32_e32 v1, 16, v1
	v_mad_co_u64_u32 v[132:133], null, ttmp9, 3, v[1:2]
	v_mov_b32_e32 v133, 0
                                        ; kill: def $vgpr2 killed $sgpr0 killed $exec
	s_wait_kmcnt 0x0
	s_delay_alu instid0(VALU_DEP_1)
	v_cmpx_gt_u64_e64 s[8:9], v[132:133]
	s_cbranch_execz .LBB0_23
; %bb.1:
	v_mul_hi_u32 v2, 0xaaaaaaab, v132
	s_clause 0x1
	s_load_b64 s[8:9], s[0:1], 0x0
	s_load_b64 s[12:13], s[0:1], 0x38
	v_mul_lo_u16 v1, v1, 39
	s_delay_alu instid0(VALU_DEP_1) | instskip(NEXT) | instid1(VALU_DEP_3)
	v_sub_nc_u16 v0, v0, v1
	v_lshrrev_b32_e32 v2, 1, v2
	s_delay_alu instid0(VALU_DEP_2) | instskip(NEXT) | instid1(VALU_DEP_2)
	v_and_b32_e32 v252, 0xffff, v0
	v_lshl_add_u32 v2, v2, 1, v2
	v_cmp_gt_u16_e32 vcc_lo, 30, v0
	s_delay_alu instid0(VALU_DEP_3) | instskip(NEXT) | instid1(VALU_DEP_3)
	v_lshlrev_b32_e32 v253, 4, v252
	v_sub_nc_u32_e32 v1, v132, v2
	s_delay_alu instid0(VALU_DEP_1) | instskip(NEXT) | instid1(VALU_DEP_1)
	v_mul_u32_u24_e32 v213, 0x186, v1
	v_lshlrev_b32_e32 v254, 4, v213
	s_and_saveexec_b32 s3, vcc_lo
	s_cbranch_execz .LBB0_3
; %bb.2:
	s_load_b64 s[4:5], s[0:1], 0x18
	s_wait_kmcnt 0x0
	s_load_b128 s[4:7], s[4:5], 0x0
	s_wait_kmcnt 0x0
	v_mad_co_u64_u32 v[16:17], null, s4, v252, 0
	v_mad_co_u64_u32 v[0:1], null, s6, v132, 0
	s_delay_alu instid0(VALU_DEP_2) | instskip(NEXT) | instid1(VALU_DEP_1)
	v_mov_b32_e32 v2, v17
	v_mad_co_u64_u32 v[3:4], null, s7, v132, v[1:2]
	s_delay_alu instid0(VALU_DEP_1) | instskip(SKIP_2) | instid1(VALU_DEP_2)
	v_mov_b32_e32 v1, v3
	v_mad_co_u64_u32 v[4:5], null, s5, v252, v[2:3]
	s_mul_u64 s[4:5], s[4:5], 0x1e0
	v_lshlrev_b64_e32 v[18:19], 4, v[0:1]
	s_delay_alu instid0(VALU_DEP_2)
	v_mov_b32_e32 v17, v4
	s_clause 0x3
	global_load_b128 v[0:3], v253, s[8:9]
	global_load_b128 v[4:7], v253, s[8:9] offset:480
	global_load_b128 v[8:11], v253, s[8:9] offset:960
	;; [unrolled: 1-line block ×3, first 2 shown]
	v_add_co_u32 v26, s2, s10, v18
	s_delay_alu instid0(VALU_DEP_1)
	v_add_co_ci_u32_e64 v27, s2, s11, v19, s2
	v_lshlrev_b64_e32 v[24:25], 4, v[16:17]
	s_clause 0x1
	global_load_b128 v[16:19], v253, s[8:9] offset:1920
	global_load_b128 v[20:23], v253, s[8:9] offset:2400
	v_add_co_u32 v40, s2, v26, v24
	s_wait_alu 0xf1ff
	v_add_co_ci_u32_e64 v41, s2, v27, v25, s2
	s_clause 0x1
	global_load_b128 v[24:27], v253, s[8:9] offset:2880
	global_load_b128 v[28:31], v253, s[8:9] offset:3360
	s_wait_alu 0xfffe
	v_add_co_u32 v44, s2, v40, s4
	s_wait_alu 0xf1ff
	v_add_co_ci_u32_e64 v45, s2, s5, v41, s2
	s_clause 0x1
	global_load_b128 v[32:35], v253, s[8:9] offset:3840
	global_load_b128 v[36:39], v253, s[8:9] offset:4320
	v_add_co_u32 v48, s2, v44, s4
	s_wait_alu 0xf1ff
	v_add_co_ci_u32_e64 v49, s2, s5, v45, s2
	s_clause 0x1
	global_load_b128 v[40:43], v[40:41], off
	global_load_b128 v[44:47], v[44:45], off
	v_add_co_u32 v52, s2, v48, s4
	s_wait_alu 0xf1ff
	v_add_co_ci_u32_e64 v53, s2, s5, v49, s2
	s_delay_alu instid0(VALU_DEP_2) | instskip(SKIP_1) | instid1(VALU_DEP_2)
	v_add_co_u32 v56, s2, v52, s4
	s_wait_alu 0xf1ff
	v_add_co_ci_u32_e64 v57, s2, s5, v53, s2
	s_clause 0x1
	global_load_b128 v[48:51], v[48:49], off
	global_load_b128 v[52:55], v[52:53], off
	v_add_co_u32 v60, s2, v56, s4
	s_wait_alu 0xf1ff
	v_add_co_ci_u32_e64 v61, s2, s5, v57, s2
	global_load_b128 v[56:59], v[56:57], off
	v_add_co_u32 v64, s2, v60, s4
	s_wait_alu 0xf1ff
	v_add_co_ci_u32_e64 v65, s2, s5, v61, s2
	;; [unrolled: 4-line block ×8, first 2 shown]
	s_clause 0x1
	global_load_b128 v[84:87], v253, s[8:9] offset:4800
	global_load_b128 v[88:91], v253, s[8:9] offset:5280
	global_load_b128 v[92:95], v[92:93], off
	global_load_b128 v[96:99], v253, s[8:9] offset:5760
	global_load_b128 v[100:103], v[100:101], off
	s_wait_loadcnt 0xf
	v_mul_f64_e32 v[104:105], v[42:43], v[2:3]
	v_mul_f64_e32 v[2:3], v[40:41], v[2:3]
	s_wait_loadcnt 0xe
	v_mul_f64_e32 v[106:107], v[46:47], v[6:7]
	v_mul_f64_e32 v[6:7], v[44:45], v[6:7]
	;; [unrolled: 3-line block ×10, first 2 shown]
	v_fma_f64 v[38:39], v[40:41], v[0:1], v[104:105]
	v_fma_f64 v[40:41], v[42:43], v[0:1], -v[2:3]
	v_fma_f64 v[0:1], v[44:45], v[4:5], v[106:107]
	v_fma_f64 v[2:3], v[46:47], v[4:5], -v[6:7]
	s_wait_loadcnt 0x4
	v_mul_f64_e32 v[126:127], v[82:83], v[86:87]
	v_mul_f64_e32 v[86:87], v[80:81], v[86:87]
	s_wait_loadcnt 0x2
	v_mul_f64_e32 v[128:129], v[94:95], v[90:91]
	v_mul_f64_e32 v[90:91], v[92:93], v[90:91]
	;; [unrolled: 3-line block ×3, first 2 shown]
	v_fma_f64 v[4:5], v[48:49], v[8:9], v[108:109]
	v_fma_f64 v[6:7], v[50:51], v[8:9], -v[10:11]
	v_fma_f64 v[8:9], v[52:53], v[12:13], v[110:111]
	v_fma_f64 v[10:11], v[54:55], v[12:13], -v[14:15]
	v_fma_f64 v[12:13], v[56:57], v[16:17], v[112:113]
	v_fma_f64 v[14:15], v[58:59], v[16:17], -v[18:19]
	v_fma_f64 v[16:17], v[60:61], v[20:21], v[114:115]
	v_fma_f64 v[18:19], v[62:63], v[20:21], -v[22:23]
	v_fma_f64 v[20:21], v[64:65], v[24:25], v[116:117]
	v_fma_f64 v[22:23], v[66:67], v[24:25], -v[26:27]
	v_fma_f64 v[24:25], v[68:69], v[28:29], v[118:119]
	v_fma_f64 v[26:27], v[70:71], v[28:29], -v[30:31]
	v_fma_f64 v[28:29], v[72:73], v[32:33], v[120:121]
	v_fma_f64 v[30:31], v[74:75], v[32:33], -v[34:35]
	v_fma_f64 v[32:33], v[76:77], v[36:37], v[122:123]
	v_fma_f64 v[34:35], v[78:79], v[36:37], -v[124:125]
	v_lshl_add_u32 v36, v252, 4, v254
	v_add_nc_u32_e32 v37, v254, v253
	v_fma_f64 v[42:43], v[80:81], v[84:85], v[126:127]
	v_fma_f64 v[44:45], v[82:83], v[84:85], -v[86:87]
	v_fma_f64 v[46:47], v[92:93], v[88:89], v[128:129]
	v_fma_f64 v[48:49], v[94:95], v[88:89], -v[90:91]
	;; [unrolled: 2-line block ×3, first 2 shown]
	ds_store_b128 v36, v[38:41]
	ds_store_b128 v37, v[0:3] offset:480
	ds_store_b128 v37, v[4:7] offset:960
	;; [unrolled: 1-line block ×12, first 2 shown]
.LBB0_3:
	s_or_b32 exec_lo, exec_lo, s3
	global_wb scope:SCOPE_SE
	s_wait_dscnt 0x0
	s_wait_kmcnt 0x0
	s_barrier_signal -1
	s_barrier_wait -1
	global_inv scope:SCOPE_SE
                                        ; implicit-def: $vgpr24_vgpr25
                                        ; implicit-def: $vgpr44_vgpr45
                                        ; implicit-def: $vgpr48_vgpr49
                                        ; implicit-def: $vgpr52_vgpr53
                                        ; implicit-def: $vgpr64_vgpr65
                                        ; implicit-def: $vgpr60_vgpr61
                                        ; implicit-def: $vgpr40_vgpr41
                                        ; implicit-def: $vgpr32_vgpr33
                                        ; implicit-def: $vgpr28_vgpr29
                                        ; implicit-def: $vgpr20_vgpr21
                                        ; implicit-def: $vgpr16_vgpr17
                                        ; implicit-def: $vgpr8_vgpr9
                                        ; implicit-def: $vgpr4_vgpr5
	s_and_saveexec_b32 s2, vcc_lo
	s_cbranch_execz .LBB0_5
; %bb.4:
	v_lshl_add_u32 v0, v213, 4, v253
	ds_load_b128 v[24:27], v0
	ds_load_b128 v[44:47], v0 offset:480
	ds_load_b128 v[48:51], v0 offset:960
	;; [unrolled: 1-line block ×12, first 2 shown]
.LBB0_5:
	s_wait_alu 0xfffe
	s_or_b32 exec_lo, exec_lo, s2
	s_wait_dscnt 0x0
	v_add_f64_e64 v[76:77], v[46:47], -v[6:7]
	v_add_f64_e64 v[72:73], v[44:45], -v[4:5]
	s_mov_b32 s6, 0x4267c47c
	s_mov_b32 s16, 0x42a4c3d2
	;; [unrolled: 1-line block ×8, first 2 shown]
	v_add_f64_e32 v[70:71], v[44:45], v[4:5]
	v_add_f64_e32 v[74:75], v[46:47], v[6:7]
	v_add_f64_e64 v[78:79], v[50:51], -v[10:11]
	v_add_f64_e64 v[68:69], v[48:49], -v[8:9]
	s_mov_b32 s22, 0xe00740e9
	s_mov_b32 s26, 0x1ea71119
	;; [unrolled: 1-line block ×12, first 2 shown]
	v_add_f64_e64 v[205:206], v[54:55], -v[18:19]
	v_add_f64_e64 v[155:156], v[52:53], -v[16:17]
	v_add_f64_e32 v[143:144], v[48:49], v[8:9]
	v_add_f64_e32 v[207:208], v[50:51], v[10:11]
	s_mov_b32 s34, 0x93053d00
	s_mov_b32 s38, 0xd0032e0c
	;; [unrolled: 1-line block ×6, first 2 shown]
	s_wait_alu 0xfffe
	s_mov_b32 s24, s10
	s_mov_b32 s30, s6
	v_mul_f64_e32 v[80:81], s[6:7], v[76:77]
	v_mul_f64_e32 v[82:83], s[6:7], v[72:73]
	;; [unrolled: 1-line block ×8, first 2 shown]
	v_add_f64_e32 v[173:174], v[52:53], v[16:17]
	v_add_f64_e32 v[209:210], v[54:55], v[18:19]
	v_add_f64_e64 v[92:93], v[64:65], -v[20:21]
	v_add_f64_e64 v[175:176], v[66:67], -v[22:23]
	v_mul_f64_e32 v[98:99], s[16:17], v[78:79]
	v_mul_f64_e32 v[100:101], s[16:17], v[68:69]
	;; [unrolled: 1-line block ×8, first 2 shown]
	v_add_f64_e32 v[110:111], v[64:65], v[20:21]
	v_add_f64_e32 v[199:200], v[66:67], v[22:23]
	v_add_f64_e64 v[94:95], v[60:61], -v[28:29]
	v_add_f64_e64 v[151:152], v[62:63], -v[30:31]
	s_mov_b32 s47, 0xbfe5384d
	s_mov_b32 s37, 0x3fefc445
	v_mul_f64_e32 v[145:146], s[14:15], v[205:206]
	v_mul_f64_e32 v[161:162], s[14:15], v[155:156]
	;; [unrolled: 1-line block ×8, first 2 shown]
	s_mov_b32 s43, 0x3fcea1e5
	s_mov_b32 s46, s40
	s_mov_b32 s36, s14
	s_mov_b32 s42, s28
	v_fma_f64 v[0:1], v[70:71], s[22:23], v[80:81]
	v_fma_f64 v[2:3], v[74:75], s[22:23], -v[82:83]
	v_fma_f64 v[12:13], v[70:71], s[26:27], v[84:85]
	v_fma_f64 v[14:15], v[74:75], s[26:27], -v[86:87]
	v_fma_f64 v[36:37], v[70:71], s[20:21], v[88:89]
	v_fma_f64 v[38:39], v[74:75], s[20:21], -v[90:91]
	v_fma_f64 v[56:57], v[70:71], s[18:19], v[203:204]
	v_fma_f64 v[58:59], v[74:75], s[18:19], -v[211:212]
	v_add_f64_e32 v[193:194], v[62:63], v[30:31]
	v_add_f64_e64 v[163:164], v[42:43], -v[34:35]
	v_mul_f64_e32 v[106:107], s[10:11], v[92:93]
	v_mul_f64_e32 v[102:103], s[10:11], v[175:176]
	v_fma_f64 v[96:97], v[143:144], s[26:27], v[98:99]
	v_fma_f64 v[114:115], v[207:208], s[26:27], -v[100:101]
	v_fma_f64 v[118:119], v[143:144], s[18:19], v[108:109]
	v_fma_f64 v[126:127], v[207:208], s[18:19], -v[120:121]
	;; [unrolled: 2-line block ×4, first 2 shown]
	v_mul_f64_e32 v[112:113], s[40:41], v[175:176]
	v_mul_f64_e32 v[116:117], s[40:41], v[92:93]
	v_mul_f64_e32 v[124:125], s[30:31], v[175:176]
	v_mul_f64_e32 v[130:131], s[30:31], v[92:93]
	v_mul_f64_e32 v[157:158], s[14:15], v[175:176]
	v_mul_f64_e32 v[179:180], s[14:15], v[92:93]
	v_fma_f64 v[147:148], v[173:174], s[20:21], v[145:146]
	v_fma_f64 v[153:154], v[209:210], s[20:21], -v[161:162]
	v_fma_f64 v[165:166], v[173:174], s[34:35], v[171:172]
	v_fma_f64 v[169:170], v[209:210], s[34:35], -v[181:182]
	;; [unrolled: 2-line block ×4, first 2 shown]
	v_mul_f64_e32 v[141:142], s[36:37], v[94:95]
	v_mul_f64_e32 v[149:150], s[16:17], v[151:152]
	;; [unrolled: 1-line block ×4, first 2 shown]
	v_add_f64_e32 v[0:1], v[24:25], v[0:1]
	v_add_f64_e32 v[2:3], v[26:27], v[2:3]
	;; [unrolled: 1-line block ×8, first 2 shown]
	v_mul_f64_e32 v[185:186], s[42:43], v[94:95]
	s_mov_b32 s45, 0x3fea55e2
	v_fma_f64 v[218:219], v[199:200], s[18:19], -v[106:107]
	v_fma_f64 v[216:217], v[110:111], s[18:19], v[102:103]
	s_mov_b32 s44, s16
	s_clause 0x1
	s_load_b64 s[4:5], s[0:1], 0x20
	s_load_b64 s[2:3], s[0:1], 0x8
	v_fma_f64 v[220:221], v[110:111], s[38:39], v[112:113]
	v_fma_f64 v[222:223], v[199:200], s[38:39], -v[116:117]
	v_fma_f64 v[224:225], v[110:111], s[22:23], v[124:125]
	v_fma_f64 v[226:227], v[199:200], s[22:23], -v[130:131]
	;; [unrolled: 2-line block ×3, first 2 shown]
	v_fma_f64 v[236:237], v[193:194], s[20:21], -v[141:142]
	v_fma_f64 v[240:241], v[193:194], s[26:27], -v[159:160]
	v_add_f64_e32 v[0:1], v[96:97], v[0:1]
	v_add_f64_e32 v[2:3], v[114:115], v[2:3]
	v_add_f64_e32 v[12:13], v[118:119], v[12:13]
	v_add_f64_e32 v[14:15], v[126:127], v[14:15]
	v_add_f64_e32 v[36:37], v[128:129], v[36:37]
	v_add_f64_e32 v[38:39], v[133:134], v[38:39]
	v_add_f64_e32 v[56:57], v[135:136], v[56:57]
	v_add_f64_e32 v[58:59], v[137:138], v[58:59]
	v_add_f64_e32 v[114:115], v[60:61], v[28:29]
	v_add_f64_e64 v[96:97], v[40:41], -v[32:33]
	v_mul_f64_e32 v[118:119], s[46:47], v[151:152]
	v_mul_f64_e32 v[126:127], s[46:47], v[94:95]
	;; [unrolled: 1-line block ×3, first 2 shown]
	v_add_f64_e32 v[135:136], v[40:41], v[32:33]
	v_mul_f64_e32 v[128:129], s[28:29], v[163:164]
	v_fma_f64 v[244:245], v[193:194], s[34:35], -v[185:186]
	v_add_f64_e32 v[0:1], v[147:148], v[0:1]
	v_add_f64_e32 v[2:3], v[153:154], v[2:3]
	;; [unrolled: 1-line block ×9, first 2 shown]
	v_mul_f64_e32 v[137:138], s[28:29], v[96:97]
	v_mul_f64_e32 v[147:148], s[30:31], v[163:164]
	v_mul_f64_e32 v[153:154], s[30:31], v[96:97]
	v_mul_f64_e32 v[165:166], s[46:47], v[163:164]
	v_mul_f64_e32 v[169:170], s[46:47], v[96:97]
	v_mul_f64_e32 v[177:178], s[44:45], v[163:164]
	v_mul_f64_e32 v[187:188], s[44:45], v[96:97]
	v_fma_f64 v[214:215], v[114:115], s[38:39], v[118:119]
	v_fma_f64 v[232:233], v[193:194], s[38:39], -v[126:127]
	v_fma_f64 v[234:235], v[114:115], s[20:21], v[133:134]
	v_fma_f64 v[238:239], v[114:115], s[26:27], v[149:150]
	;; [unrolled: 1-line block ×3, first 2 shown]
	v_add_f64_e32 v[0:1], v[216:217], v[0:1]
	v_add_f64_e32 v[2:3], v[218:219], v[2:3]
	;; [unrolled: 1-line block ×8, first 2 shown]
	v_fma_f64 v[216:217], v[135:136], s[34:35], v[128:129]
	v_fma_f64 v[218:219], v[195:196], s[34:35], -v[137:138]
	v_fma_f64 v[220:221], v[135:136], s[22:23], v[147:148]
	v_fma_f64 v[222:223], v[195:196], s[22:23], -v[153:154]
	;; [unrolled: 2-line block ×4, first 2 shown]
	v_add_f64_e32 v[0:1], v[214:215], v[0:1]
	v_add_f64_e32 v[2:3], v[232:233], v[2:3]
	;; [unrolled: 1-line block ×16, first 2 shown]
	v_mul_lo_u16 v214, v252, 13
	scratch_store_b32 off, v214, off offset:24 ; 4-byte Folded Spill
	global_wb scope:SCOPE_SE
	s_wait_storecnt 0x0
	s_wait_kmcnt 0x0
	s_barrier_signal -1
	s_barrier_wait -1
	global_inv scope:SCOPE_SE
	s_and_saveexec_b32 s0, vcc_lo
	s_cbranch_execz .LBB0_7
; %bb.6:
	v_add_f64_e32 v[46:47], v[26:27], v[46:47]
	v_add_f64_e32 v[44:45], v[24:25], v[44:45]
	v_mul_f64_e32 v[214:215], s[20:21], v[70:71]
	v_mul_f64_e32 v[216:217], s[26:27], v[74:75]
	;; [unrolled: 1-line block ×16, first 2 shown]
	v_add_f64_e32 v[46:47], v[46:47], v[50:51]
	v_add_f64_e32 v[44:45], v[44:45], v[48:49]
	v_mul_f64_e32 v[48:49], s[34:35], v[74:75]
	v_mul_f64_e32 v[50:51], s[28:29], v[76:77]
	v_add_f64_e64 v[84:85], v[218:219], -v[84:85]
	v_add_f64_e64 v[80:81], v[220:221], -v[80:81]
	v_mul_f64_e32 v[218:219], s[20:21], v[173:174]
	v_add_f64_e64 v[108:109], v[228:229], -v[108:109]
	v_mul_f64_e32 v[228:229], s[26:27], v[199:200]
	v_add_f64_e32 v[120:121], v[120:121], v[232:233]
	v_mul_f64_e32 v[220:221], s[18:19], v[110:111]
	v_mul_f64_e32 v[232:233], s[20:21], v[114:115]
	v_add_f64_e64 v[98:99], v[224:225], -v[98:99]
	v_add_f64_e32 v[100:101], v[100:101], v[226:227]
	v_add_f64_e32 v[106:107], v[106:107], v[244:245]
	v_add_f64_e64 v[112:113], v[246:247], -v[112:113]
	v_add_f64_e32 v[116:117], v[116:117], v[248:249]
	v_add_f64_e64 v[124:125], v[250:251], -v[124:125]
	v_add_f64_e32 v[46:47], v[46:47], v[54:55]
	v_add_f64_e32 v[44:45], v[44:45], v[52:53]
	v_mul_f64_e32 v[52:53], s[38:39], v[74:75]
	v_mul_f64_e32 v[54:55], s[46:47], v[76:77]
	;; [unrolled: 1-line block ×3, first 2 shown]
	v_fma_f64 v[236:237], v[72:73], s[42:43], v[48:49]
	v_fma_f64 v[238:239], v[70:71], s[34:35], v[50:51]
	;; [unrolled: 1-line block ×3, first 2 shown]
	v_fma_f64 v[50:51], v[70:71], s[34:35], -v[50:51]
	v_add_f64_e32 v[84:85], v[24:25], v[84:85]
	v_add_f64_e64 v[145:146], v[218:219], -v[145:146]
	v_add_f64_e64 v[102:103], v[220:221], -v[102:103]
	v_mul_f64_e32 v[218:219], s[22:23], v[135:136]
	v_add_f64_e64 v[133:134], v[232:233], -v[133:134]
	v_add_f64_e32 v[46:47], v[46:47], v[66:67]
	v_add_f64_e32 v[44:45], v[44:45], v[64:65]
	v_mul_f64_e32 v[64:65], s[18:19], v[74:75]
	v_mul_f64_e32 v[66:67], s[18:19], v[70:71]
	;; [unrolled: 1-line block ×3, first 2 shown]
	v_fma_f64 v[240:241], v[72:73], s[40:41], v[52:53]
	v_fma_f64 v[242:243], v[70:71], s[38:39], v[54:55]
	;; [unrolled: 1-line block ×3, first 2 shown]
	v_fma_f64 v[54:55], v[70:71], s[38:39], -v[54:55]
	v_add_f64_e32 v[70:71], v[90:91], v[76:77]
	v_add_f64_e64 v[72:73], v[214:215], -v[88:89]
	v_add_f64_e32 v[76:77], v[86:87], v[216:217]
	v_mul_f64_e32 v[86:87], s[38:39], v[207:208]
	v_mul_f64_e32 v[88:89], s[22:23], v[209:210]
	;; [unrolled: 1-line block ×4, first 2 shown]
	v_add_f64_e32 v[236:237], v[26:27], v[236:237]
	v_add_f64_e32 v[238:239], v[24:25], v[238:239]
	;; [unrolled: 1-line block ×4, first 2 shown]
	v_mul_f64_e32 v[90:91], s[18:19], v[173:174]
	v_add_f64_e32 v[46:47], v[46:47], v[62:63]
	v_add_f64_e32 v[44:45], v[44:45], v[60:61]
	v_mul_f64_e32 v[60:61], s[38:39], v[209:210]
	v_mul_f64_e32 v[62:63], s[22:23], v[207:208]
	v_add_f64_e32 v[64:65], v[211:212], v[64:65]
	v_add_f64_e64 v[66:67], v[66:67], -v[203:204]
	v_add_f64_e32 v[74:75], v[82:83], v[74:75]
	v_mul_f64_e32 v[82:83], s[34:35], v[143:144]
	v_add_f64_e32 v[240:241], v[26:27], v[240:241]
	v_add_f64_e32 v[242:243], v[24:25], v[242:243]
	;; [unrolled: 1-line block ×8, first 2 shown]
	v_mul_f64_e32 v[203:204], s[18:19], v[209:210]
	v_mul_f64_e32 v[211:212], s[22:23], v[173:174]
	;; [unrolled: 1-line block ×3, first 2 shown]
	v_add_f64_e32 v[88:89], v[201:202], v[88:89]
	v_mul_f64_e32 v[183:184], s[20:21], v[199:200]
	v_add_f64_e32 v[181:182], v[181:182], v[214:215]
	v_add_f64_e64 v[171:172], v[216:217], -v[171:172]
	v_add_f64_e64 v[90:91], v[90:91], -v[189:190]
	v_mul_f64_e32 v[201:202], s[20:21], v[110:111]
	v_mul_f64_e32 v[214:215], s[34:35], v[193:194]
	;; [unrolled: 1-line block ×4, first 2 shown]
	v_add_f64_e32 v[42:43], v[46:47], v[42:43]
	v_add_f64_e32 v[40:41], v[44:45], v[40:41]
	v_mul_f64_e32 v[44:45], s[34:35], v[207:208]
	v_mul_f64_e32 v[46:47], s[38:39], v[143:144]
	;; [unrolled: 1-line block ×3, first 2 shown]
	v_add_f64_e32 v[64:65], v[26:27], v[64:65]
	v_add_f64_e32 v[66:67], v[24:25], v[66:67]
	;; [unrolled: 1-line block ×4, first 2 shown]
	v_fma_f64 v[74:75], v[155:156], s[40:41], v[60:61]
	v_fma_f64 v[80:81], v[68:69], s[6:7], v[62:63]
	v_add_f64_e64 v[82:83], v[82:83], -v[104:105]
	v_mul_f64_e32 v[205:206], s[16:17], v[205:206]
	v_mul_f64_e32 v[104:105], s[44:45], v[175:176]
	;; [unrolled: 1-line block ×3, first 2 shown]
	v_add_f64_e32 v[191:192], v[191:192], v[203:204]
	v_add_f64_e64 v[197:198], v[211:212], -v[197:198]
	v_add_f64_e32 v[161:162], v[161:162], v[209:210]
	v_mul_f64_e32 v[203:204], s[26:27], v[193:194]
	v_mul_f64_e32 v[211:212], s[38:39], v[114:115]
	;; [unrolled: 1-line block ×3, first 2 shown]
	v_add_f64_e64 v[157:158], v[201:202], -v[157:158]
	v_add_f64_e32 v[34:35], v[42:43], v[34:35]
	v_add_f64_e32 v[32:33], v[40:41], v[32:33]
	v_fma_f64 v[40:41], v[143:144], s[22:23], v[222:223]
	v_fma_f64 v[42:43], v[155:156], s[46:47], v[60:61]
	v_fma_f64 v[60:61], v[68:69], s[30:31], v[62:63]
	v_fma_f64 v[62:63], v[143:144], s[22:23], -v[222:223]
	v_fma_f64 v[222:223], v[155:156], s[44:45], v[230:231]
	v_fma_f64 v[155:156], v[155:156], s[16:17], v[230:231]
	;; [unrolled: 1-line block ×4, first 2 shown]
	v_add_f64_e32 v[44:45], v[139:140], v[44:45]
	v_add_f64_e64 v[46:47], v[46:47], -v[122:123]
	v_fma_f64 v[234:235], v[143:144], s[20:21], v[78:79]
	v_fma_f64 v[78:79], v[143:144], s[20:21], -v[78:79]
	v_mul_f64_e32 v[143:144], s[22:23], v[199:200]
	v_mul_f64_e32 v[199:200], s[34:35], v[199:200]
	v_fma_f64 v[226:227], v[173:174], s[38:39], v[207:208]
	v_fma_f64 v[207:208], v[173:174], s[38:39], -v[207:208]
	v_add_f64_e32 v[64:65], v[86:87], v[64:65]
	v_add_f64_e32 v[72:73], v[82:83], v[72:73]
	v_fma_f64 v[224:225], v[173:174], s[26:27], v[205:206]
	v_fma_f64 v[173:174], v[173:174], s[26:27], -v[205:206]
	v_add_f64_e32 v[80:81], v[80:81], v[236:237]
	v_add_f64_e32 v[26:27], v[100:101], v[26:27]
	;; [unrolled: 1-line block ×3, first 2 shown]
	v_mul_f64_e32 v[122:123], s[20:21], v[193:194]
	v_mul_f64_e32 v[82:83], s[22:23], v[193:194]
	v_fma_f64 v[86:87], v[92:93], s[16:17], v[228:229]
	v_fma_f64 v[98:99], v[110:111], s[26:27], v[104:105]
	;; [unrolled: 1-line block ×3, first 2 shown]
	v_fma_f64 v[104:105], v[110:111], s[26:27], -v[104:105]
	v_mul_f64_e32 v[205:206], s[26:27], v[114:115]
	v_mul_f64_e32 v[139:140], s[38:39], v[193:194]
	;; [unrolled: 1-line block ×3, first 2 shown]
	v_add_f64_e64 v[118:119], v[211:212], -v[118:119]
	v_add_f64_e32 v[30:31], v[34:35], v[30:31]
	v_add_f64_e32 v[28:29], v[32:33], v[28:29]
	;; [unrolled: 1-line block ×3, first 2 shown]
	v_mul_f64_e32 v[32:33], s[18:19], v[193:194]
	v_add_f64_e32 v[48:49], v[60:61], v[48:49]
	v_add_f64_e32 v[50:51], v[62:63], v[50:51]
	v_mul_f64_e32 v[34:35], s[10:11], v[151:152]
	v_mul_f64_e32 v[238:239], s[38:39], v[135:136]
	;; [unrolled: 1-line block ×3, first 2 shown]
	v_add_f64_e32 v[52:53], v[68:69], v[52:53]
	v_add_f64_e32 v[44:45], v[44:45], v[70:71]
	;; [unrolled: 1-line block ×8, first 2 shown]
	v_mul_f64_e32 v[84:85], s[30:31], v[151:152]
	v_fma_f64 v[108:109], v[92:93], s[28:29], v[199:200]
	v_fma_f64 v[92:93], v[92:93], s[42:43], v[199:200]
	v_add_f64_e32 v[151:152], v[179:180], v[183:184]
	v_add_f64_e32 v[130:131], v[130:131], v[143:144]
	;; [unrolled: 1-line block ×3, first 2 shown]
	v_fma_f64 v[120:121], v[110:111], s[34:35], v[175:176]
	v_fma_f64 v[110:111], v[110:111], s[34:35], -v[175:176]
	v_add_f64_e32 v[74:75], v[74:75], v[80:81]
	v_add_f64_e32 v[26:27], v[161:162], v[26:27]
	;; [unrolled: 1-line block ×3, first 2 shown]
	v_fma_f64 v[143:144], v[94:95], s[6:7], v[82:83]
	v_fma_f64 v[82:83], v[94:95], s[30:31], v[82:83]
	v_add_f64_e32 v[122:123], v[141:142], v[122:123]
	v_add_f64_e64 v[149:150], v[205:206], -v[149:150]
	v_mul_f64_e32 v[62:63], s[26:27], v[135:136]
	v_mul_f64_e32 v[68:69], s[26:27], v[195:196]
	;; [unrolled: 1-line block ×3, first 2 shown]
	v_add_f64_e32 v[126:127], v[126:127], v[139:140]
	v_add_f64_e32 v[22:23], v[30:31], v[22:23]
	;; [unrolled: 1-line block ×4, first 2 shown]
	v_mul_f64_e32 v[28:29], s[20:21], v[195:196]
	v_add_f64_e32 v[42:43], v[42:43], v[48:49]
	v_add_f64_e32 v[48:49], v[207:208], v[50:51]
	v_mul_f64_e32 v[30:31], s[36:37], v[163:164]
	v_fma_f64 v[90:91], v[114:115], s[18:19], v[34:35]
	v_fma_f64 v[34:35], v[114:115], s[18:19], -v[34:35]
	v_add_f64_e32 v[50:51], v[155:156], v[52:53]
	v_add_f64_e32 v[52:53], v[88:89], v[64:65]
	;; [unrolled: 1-line block ×9, first 2 shown]
	v_fma_f64 v[88:89], v[94:95], s[24:25], v[32:33]
	v_fma_f64 v[32:33], v[94:95], s[10:11], v[32:33]
	v_add_f64_e32 v[94:95], v[185:186], v[214:215]
	v_mul_f64_e32 v[78:79], s[18:19], v[195:196]
	v_add_f64_e32 v[155:156], v[159:160], v[203:204]
	v_add_f64_e32 v[72:73], v[124:125], v[72:73]
	v_fma_f64 v[145:146], v[114:115], s[22:23], v[84:85]
	v_fma_f64 v[84:85], v[114:115], s[22:23], -v[84:85]
	v_add_f64_e64 v[114:115], v[189:190], -v[167:168]
	v_add_f64_e32 v[74:75], v[86:87], v[74:75]
	v_add_f64_e32 v[26:27], v[106:107], v[26:27]
	;; [unrolled: 1-line block ×3, first 2 shown]
	v_add_f64_e64 v[62:63], v[62:63], -v[177:178]
	v_add_f64_e32 v[68:69], v[187:188], v[68:69]
	v_add_f64_e32 v[18:19], v[22:23], v[18:19]
	;; [unrolled: 1-line block ×7, first 2 shown]
	v_fma_f64 v[22:23], v[96:97], s[14:15], v[28:29]
	v_fma_f64 v[24:25], v[135:136], s[20:21], v[30:31]
	v_fma_f64 v[28:29], v[96:97], s[36:37], v[28:29]
	v_add_f64_e32 v[50:51], v[92:93], v[50:51]
	v_add_f64_e32 v[52:53], v[151:152], v[52:53]
	;; [unrolled: 1-line block ×9, first 2 shown]
	v_fma_f64 v[30:31], v[135:136], s[20:21], -v[30:31]
	v_add_f64_e32 v[98:99], v[153:154], v[236:237]
	v_add_f64_e64 v[100:101], v[218:219], -v[147:148]
	v_fma_f64 v[86:87], v[96:97], s[24:25], v[78:79]
	v_fma_f64 v[78:79], v[96:97], s[10:11], v[78:79]
	v_add_f64_e64 v[96:97], v[238:239], -v[165:166]
	v_fma_f64 v[92:93], v[135:136], s[18:19], v[80:81]
	v_fma_f64 v[80:81], v[135:136], s[18:19], -v[80:81]
	v_add_f64_e32 v[102:103], v[137:138], v[209:210]
	v_add_f64_e32 v[74:75], v[88:89], v[74:75]
	v_add_f64_e64 v[104:105], v[216:217], -v[128:129]
	v_add_f64_e32 v[40:41], v[90:91], v[40:41]
	v_add_f64_e32 v[32:33], v[32:33], v[42:43]
	;; [unrolled: 1-line block ×35, first 2 shown]
	v_mul_lo_u16 v48, v252, 13
	s_delay_alu instid0(VALU_DEP_1) | instskip(NEXT) | instid1(VALU_DEP_1)
	v_and_b32_e32 v48, 0xffff, v48
	v_add_lshl_u32 v48, v213, v48, 4
	ds_store_b128 v48, v[36:39] offset:160
	ds_store_b128 v48, v[56:59] offset:176
	;; [unrolled: 1-line block ×10, first 2 shown]
	ds_store_b128 v48, v[4:7]
	ds_store_b128 v48, v[44:47] offset:16
	ds_store_b128 v48, v[0:3] offset:192
.LBB0_7:
	s_wait_alu 0xfffe
	s_or_b32 exec_lo, exec_lo, s0
	v_add_lshl_u32 v255, v213, v252, 4
	global_wb scope:SCOPE_SE
	s_wait_dscnt 0x0
	s_barrier_signal -1
	s_barrier_wait -1
	global_inv scope:SCOPE_SE
	ds_load_b128 v[20:23], v255
	ds_load_b128 v[16:19], v255 offset:624
	ds_load_b128 v[72:75], v255 offset:4160
	;; [unrolled: 1-line block ×8, first 2 shown]
	v_cmp_gt_u16_e64 s0, 13, v252
	s_delay_alu instid0(VALU_DEP_1)
	s_and_saveexec_b32 s1, s0
	s_cbranch_execz .LBB0_9
; %bb.8:
	ds_load_b128 v[12:15], v255 offset:1872
	ds_load_b128 v[36:39], v255 offset:3952
	;; [unrolled: 1-line block ×3, first 2 shown]
.LBB0_9:
	s_wait_alu 0xfffe
	s_or_b32 exec_lo, exec_lo, s1
	v_add_nc_u16 v4, v252, 39
	v_and_b32_e32 v5, 0xff, v252
	v_add_nc_u16 v6, v252, 0x75
	v_add_nc_u16 v7, v252, 0x4e
	s_mov_b32 s6, 0xe8584caa
	v_and_b32_e32 v8, 0xff, v4
	v_mul_lo_u16 v5, 0x4f, v5
	v_and_b32_e32 v9, 0xff, v6
	v_and_b32_e32 v10, 0xff, v7
	s_mov_b32 s7, 0x3febb67a
	v_mul_lo_u16 v8, 0x4f, v8
	v_lshrrev_b16 v120, 10, v5
	v_mul_lo_u16 v5, 0x4f, v9
	v_mul_lo_u16 v9, 0x4f, v10
	s_mov_b32 s11, 0xbfebb67a
	v_lshrrev_b16 v121, 10, v8
	v_mul_lo_u16 v8, v120, 13
	v_lshrrev_b16 v5, 10, v5
	v_lshrrev_b16 v122, 10, v9
	s_wait_alu 0xfffe
	s_mov_b32 s10, s6
	v_mul_lo_u16 v9, v121, 13
	v_sub_nc_u16 v8, v252, v8
	v_mul_lo_u16 v5, v5, 13
	v_mul_lo_u16 v10, v122, 13
	s_delay_alu instid0(VALU_DEP_4) | instskip(NEXT) | instid1(VALU_DEP_4)
	v_sub_nc_u16 v4, v4, v9
	v_and_b32_e32 v123, 0xff, v8
	s_delay_alu instid0(VALU_DEP_4) | instskip(NEXT) | instid1(VALU_DEP_4)
	v_sub_nc_u16 v124, v6, v5
	v_sub_nc_u16 v5, v7, v10
	s_delay_alu instid0(VALU_DEP_4) | instskip(NEXT) | instid1(VALU_DEP_4)
	v_and_b32_e32 v125, 0xff, v4
	v_lshlrev_b32_e32 v4, 5, v123
	s_delay_alu instid0(VALU_DEP_4) | instskip(NEXT) | instid1(VALU_DEP_4)
	v_lshlrev_b16 v6, 1, v124
	v_and_b32_e32 v126, 0xff, v5
	s_clause 0x1
	global_load_b128 v[44:47], v4, s[2:3]
	global_load_b128 v[40:43], v4, s[2:3] offset:16
	v_and_b32_e32 v4, 0xfe, v6
	v_lshlrev_b32_e32 v5, 5, v125
	v_lshlrev_b32_e32 v6, 5, v126
	s_clause 0x1
	global_load_b128 v[52:55], v5, s[2:3]
	global_load_b128 v[48:51], v5, s[2:3] offset:16
	v_lshlrev_b32_e32 v4, 4, v4
	s_clause 0x3
	global_load_b128 v[32:35], v6, s[2:3]
	global_load_b128 v[28:31], v6, s[2:3] offset:16
	global_load_b128 v[8:11], v4, s[2:3]
	global_load_b128 v[4:7], v4, s[2:3] offset:16
	s_wait_loadcnt_dscnt 0x704
	v_mul_f64_e32 v[84:85], v[82:83], v[46:47]
	s_wait_loadcnt 0x6
	v_mul_f64_e32 v[86:87], v[74:75], v[42:43]
	v_mul_f64_e32 v[88:89], v[80:81], v[46:47]
	;; [unrolled: 1-line block ×3, first 2 shown]
	s_wait_loadcnt_dscnt 0x502
	v_mul_f64_e32 v[92:93], v[78:79], v[54:55]
	s_wait_loadcnt 0x4
	v_mul_f64_e32 v[94:95], v[62:63], v[50:51]
	v_mul_f64_e32 v[96:97], v[76:77], v[54:55]
	;; [unrolled: 1-line block ×3, first 2 shown]
	s_wait_loadcnt_dscnt 0x301
	v_mul_f64_e32 v[100:101], v[66:67], v[34:35]
	s_wait_loadcnt_dscnt 0x200
	v_mul_f64_e32 v[102:103], v[70:71], v[30:31]
	v_mul_f64_e32 v[104:105], v[64:65], v[34:35]
	;; [unrolled: 1-line block ×3, first 2 shown]
	s_wait_loadcnt 0x1
	v_mul_f64_e32 v[108:109], v[38:39], v[10:11]
	s_wait_loadcnt 0x0
	v_mul_f64_e32 v[110:111], v[58:59], v[6:7]
	v_mul_f64_e32 v[112:113], v[36:37], v[10:11]
	;; [unrolled: 1-line block ×3, first 2 shown]
	v_fma_f64 v[80:81], v[80:81], v[44:45], -v[84:85]
	v_fma_f64 v[72:73], v[72:73], v[40:41], -v[86:87]
	v_fma_f64 v[82:83], v[82:83], v[44:45], v[88:89]
	v_fma_f64 v[74:75], v[74:75], v[40:41], v[90:91]
	v_fma_f64 v[76:77], v[76:77], v[52:53], -v[92:93]
	v_fma_f64 v[84:85], v[60:61], v[48:49], -v[94:95]
	v_fma_f64 v[78:79], v[78:79], v[52:53], v[96:97]
	v_fma_f64 v[62:63], v[62:63], v[48:49], v[98:99]
	v_fma_f64 v[64:65], v[64:65], v[32:33], -v[100:101]
	v_fma_f64 v[68:69], v[68:69], v[28:29], -v[102:103]
	v_fma_f64 v[66:67], v[66:67], v[32:33], v[104:105]
	v_fma_f64 v[70:71], v[70:71], v[28:29], v[106:107]
	v_fma_f64 v[60:61], v[36:37], v[8:9], -v[108:109]
	v_fma_f64 v[36:37], v[56:57], v[4:5], -v[110:111]
	v_fma_f64 v[56:57], v[38:39], v[8:9], v[112:113]
	v_fma_f64 v[38:39], v[58:59], v[4:5], v[114:115]
	v_add_f64_e32 v[100:101], v[20:21], v[80:81]
	v_add_f64_e32 v[58:59], v[80:81], v[72:73]
	v_add_f64_e64 v[80:81], v[80:81], -v[72:73]
	v_add_f64_e32 v[86:87], v[82:83], v[74:75]
	v_add_f64_e64 v[102:103], v[82:83], -v[74:75]
	v_add_f64_e32 v[82:83], v[22:23], v[82:83]
	v_add_f64_e32 v[104:105], v[16:17], v[76:77]
	;; [unrolled: 1-line block ×7, first 2 shown]
	v_add_f64_e64 v[78:79], v[78:79], -v[62:63]
	v_add_f64_e32 v[94:95], v[66:67], v[70:71]
	v_add_f64_e64 v[76:77], v[76:77], -v[84:85]
	v_add_f64_e32 v[96:97], v[60:61], v[36:37]
	;; [unrolled: 2-line block ×3, first 2 shown]
	v_add_f64_e64 v[114:115], v[64:65], -v[68:69]
	v_add_f64_e64 v[116:117], v[56:57], -v[38:39]
	;; [unrolled: 1-line block ×3, first 2 shown]
	v_add_f64_e32 v[110:111], v[26:27], v[66:67]
	v_fma_f64 v[58:59], v[58:59], -0.5, v[20:21]
	v_fma_f64 v[86:87], v[86:87], -0.5, v[22:23]
	v_add_f64_e32 v[20:21], v[104:105], v[84:85]
	v_fma_f64 v[88:89], v[88:89], -0.5, v[16:17]
	v_add_f64_e32 v[16:17], v[100:101], v[72:73]
	;; [unrolled: 2-line block ×5, first 2 shown]
	v_fma_f64 v[96:97], v[96:97], -0.5, v[12:13]
	v_fma_f64 v[98:99], v[98:99], -0.5, v[14:15]
	v_add_f64_e32 v[26:27], v[110:111], v[70:71]
	v_and_b32_e32 v70, 0xffff, v122
	s_delay_alu instid0(VALU_DEP_1) | instskip(NEXT) | instid1(VALU_DEP_1)
	v_mul_u32_u24_e32 v70, 39, v70
	v_add_nc_u32_e32 v70, v70, v126
	v_fma_f64 v[62:63], v[102:103], s[6:7], v[58:59]
	s_wait_alu 0xfffe
	v_fma_f64 v[66:67], v[102:103], s[10:11], v[58:59]
	v_fma_f64 v[64:65], v[80:81], s[10:11], v[86:87]
	;; [unrolled: 1-line block ×3, first 2 shown]
	v_and_b32_e32 v58, 0xffff, v120
	v_and_b32_e32 v59, 0xffff, v121
	v_fma_f64 v[80:81], v[78:79], s[6:7], v[88:89]
	v_fma_f64 v[84:85], v[78:79], s[10:11], v[88:89]
	;; [unrolled: 1-line block ×12, first 2 shown]
	v_mul_u32_u24_e32 v58, 39, v58
	s_load_b128 s[4:7], s[4:5], 0x0
	v_mul_u32_u24_e32 v59, 39, v59
	global_wb scope:SCOPE_SE
	s_wait_kmcnt 0x0
	s_barrier_signal -1
	v_add_nc_u32_e32 v58, v58, v123
	s_barrier_wait -1
	v_add_nc_u32_e32 v59, v59, v125
	global_inv scope:SCOPE_SE
	v_add_lshl_u32 v71, v213, v58, 4
	v_add_lshl_u32 v58, v213, v70, 4
	;; [unrolled: 1-line block ×3, first 2 shown]
	ds_store_b128 v71, v[16:19]
	ds_store_b128 v71, v[62:65] offset:208
	v_and_b32_e32 v16, 0xff, v124
	scratch_store_b32 off, v71, off offset:16 ; 4-byte Folded Spill
	ds_store_b128 v71, v[66:69] offset:416
	ds_store_b128 v59, v[20:23]
	ds_store_b128 v59, v[80:83] offset:208
	s_clause 0x1
	scratch_store_b32 off, v16, off offset:4
	scratch_store_b32 off, v59, off offset:12
	ds_store_b128 v59, v[84:87] offset:416
	ds_store_b128 v58, v[24:27]
	ds_store_b128 v58, v[88:91] offset:208
	scratch_store_b32 off, v58, off offset:8 ; 4-byte Folded Spill
	ds_store_b128 v58, v[92:95] offset:416
	s_and_saveexec_b32 s1, s0
	s_cbranch_execz .LBB0_11
; %bb.10:
	scratch_load_b32 v16, off, off offset:4 ; 4-byte Folded Reload
	v_add_f64_e32 v[14:15], v[14:15], v[56:57]
	v_add_f64_e32 v[12:13], v[12:13], v[60:61]
	s_delay_alu instid0(VALU_DEP_2) | instskip(NEXT) | instid1(VALU_DEP_2)
	v_add_f64_e32 v[14:15], v[14:15], v[38:39]
	v_add_f64_e32 v[12:13], v[12:13], v[36:37]
	s_wait_loadcnt 0x0
	v_add_lshl_u32 v16, v213, v16, 4
	ds_store_b128 v16, v[12:15] offset:5616
	ds_store_b128 v16, v[76:79] offset:5824
	;; [unrolled: 1-line block ×3, first 2 shown]
.LBB0_11:
	s_wait_alu 0xfffe
	s_or_b32 exec_lo, exec_lo, s1
	v_mad_co_u64_u32 v[16:17], null, 0x90, v252, s[2:3]
	global_wb scope:SCOPE_SE
	s_wait_storecnt_dscnt 0x0
	s_barrier_signal -1
	s_barrier_wait -1
	global_inv scope:SCOPE_SE
	s_mov_b32 s10, 0x134454ff
	s_mov_b32 s11, 0x3fee6f0e
	s_clause 0x8
	global_load_b128 v[56:59], v[16:17], off offset:448
	global_load_b128 v[64:67], v[16:17], off offset:480
	;; [unrolled: 1-line block ×9, first 2 shown]
	ds_load_b128 v[80:83], v255 offset:1872
	ds_load_b128 v[84:87], v255 offset:3120
	;; [unrolled: 1-line block ×6, first 2 shown]
	s_mov_b32 s3, 0xbfee6f0e
	s_wait_alu 0xfffe
	s_mov_b32 s2, s10
	s_mov_b32 s16, 0x4755a5e
	;; [unrolled: 1-line block ×4, first 2 shown]
	s_wait_alu 0xfffe
	s_mov_b32 s14, s16
	s_mov_b32 s18, 0x372fe950
	;; [unrolled: 1-line block ×5, first 2 shown]
	s_wait_loadcnt_dscnt 0x805
	v_mul_f64_e32 v[104:105], v[82:83], v[58:59]
	v_mul_f64_e32 v[106:107], v[80:81], v[58:59]
	s_wait_loadcnt_dscnt 0x704
	v_mul_f64_e32 v[108:109], v[86:87], v[66:67]
	v_mul_f64_e32 v[110:111], v[84:85], v[66:67]
	s_wait_loadcnt_dscnt 0x603
	v_mul_f64_e32 v[112:113], v[88:89], v[62:63]
	s_wait_loadcnt_dscnt 0x502
	v_mul_f64_e32 v[114:115], v[92:93], v[70:71]
	v_mul_f64_e32 v[116:117], v[94:95], v[70:71]
	;; [unrolled: 1-line block ×3, first 2 shown]
	s_wait_loadcnt_dscnt 0x401
	v_mul_f64_e32 v[120:121], v[98:99], v[14:15]
	v_mul_f64_e32 v[122:123], v[96:97], v[14:15]
	v_fma_f64 v[104:105], v[80:81], v[56:57], -v[104:105]
	v_fma_f64 v[106:107], v[82:83], v[56:57], v[106:107]
	v_fma_f64 v[108:109], v[84:85], v[64:65], -v[108:109]
	v_fma_f64 v[110:111], v[86:87], v[64:65], v[110:111]
	v_fma_f64 v[112:113], v[90:91], v[60:61], v[112:113]
	;; [unrolled: 1-line block ×3, first 2 shown]
	v_fma_f64 v[92:93], v[92:93], v[68:69], -v[116:117]
	v_fma_f64 v[114:115], v[88:89], v[60:61], -v[118:119]
	ds_load_b128 v[80:83], v255 offset:2496
	ds_load_b128 v[84:87], v255 offset:3744
	;; [unrolled: 1-line block ×3, first 2 shown]
	s_wait_loadcnt_dscnt 0x303
	v_mul_f64_e32 v[116:117], v[102:103], v[38:39]
	v_mul_f64_e32 v[118:119], v[100:101], v[38:39]
	v_fma_f64 v[96:97], v[96:97], v[12:13], -v[120:121]
	v_fma_f64 v[98:99], v[98:99], v[12:13], v[122:123]
	s_wait_loadcnt_dscnt 0x202
	v_mul_f64_e32 v[124:125], v[82:83], v[26:27]
	v_mul_f64_e32 v[126:127], v[80:81], v[26:27]
	s_wait_loadcnt_dscnt 0x101
	v_mul_f64_e32 v[128:129], v[86:87], v[22:23]
	s_wait_loadcnt_dscnt 0x0
	v_mul_f64_e32 v[130:131], v[90:91], v[18:19]
	v_mul_f64_e32 v[133:134], v[84:85], v[22:23]
	;; [unrolled: 1-line block ×3, first 2 shown]
	v_add_f64_e64 v[145:146], v[104:105], -v[108:109]
	v_add_f64_e64 v[149:150], v[108:109], -v[104:105]
	v_add_f64_e32 v[120:121], v[110:111], v[112:113]
	v_add_f64_e32 v[122:123], v[106:107], v[94:95]
	;; [unrolled: 1-line block ×4, first 2 shown]
	v_add_f64_e64 v[147:148], v[92:93], -v[114:115]
	v_fma_f64 v[100:101], v[100:101], v[36:37], -v[116:117]
	v_fma_f64 v[102:103], v[102:103], v[36:37], v[118:119]
	v_add_f64_e64 v[151:152], v[114:115], -v[92:93]
	v_add_f64_e64 v[153:154], v[106:107], -v[110:111]
	;; [unrolled: 1-line block ×5, first 2 shown]
	v_fma_f64 v[116:117], v[80:81], v[24:25], -v[124:125]
	v_fma_f64 v[118:119], v[82:83], v[24:25], v[126:127]
	v_fma_f64 v[84:85], v[84:85], v[20:21], -v[128:129]
	v_fma_f64 v[88:89], v[88:89], v[16:17], -v[130:131]
	v_fma_f64 v[86:87], v[86:87], v[20:21], v[133:134]
	v_fma_f64 v[90:91], v[90:91], v[16:17], v[135:136]
	v_add_f64_e64 v[124:125], v[106:107], -v[94:95]
	v_add_f64_e64 v[126:127], v[110:111], -v[112:113]
	v_add_f64_e64 v[128:129], v[104:105], -v[92:93]
	v_add_f64_e64 v[130:131], v[108:109], -v[114:115]
	ds_load_b128 v[80:83], v255
	s_clause 0x1
	scratch_store_b32 off, v252, off offset:20
	scratch_store_b32 off, v254, off
	v_lshl_add_u32 v254, v252, 4, v254
	v_fma_f64 v[120:121], v[120:121], -0.5, v[98:99]
	v_fma_f64 v[122:123], v[122:123], -0.5, v[98:99]
	;; [unrolled: 1-line block ×4, first 2 shown]
	v_add_f64_e32 v[96:97], v[96:97], v[104:105]
	v_add_f64_e32 v[98:99], v[98:99], v[106:107]
	s_wait_dscnt 0x0
	v_add_f64_e32 v[169:170], v[80:81], v[100:101]
	v_add_f64_e32 v[175:176], v[82:83], v[102:103]
	;; [unrolled: 1-line block ×6, first 2 shown]
	v_add_f64_e64 v[171:172], v[102:103], -v[90:91]
	v_add_f64_e64 v[173:174], v[118:119], -v[86:87]
	;; [unrolled: 1-line block ×4, first 2 shown]
	v_fma_f64 v[161:162], v[128:129], s[2:3], v[120:121]
	v_fma_f64 v[163:164], v[130:131], s[10:11], v[122:123]
	;; [unrolled: 1-line block ×8, first 2 shown]
	v_add_f64_e32 v[96:97], v[96:97], v[108:109]
	v_add_f64_e32 v[98:99], v[98:99], v[110:111]
	v_fma_f64 v[104:105], v[137:138], -0.5, v[80:81]
	v_fma_f64 v[80:81], v[139:140], -0.5, v[80:81]
	;; [unrolled: 1-line block ×4, first 2 shown]
	v_add_f64_e32 v[137:138], v[145:146], v[147:148]
	v_add_f64_e32 v[139:140], v[149:150], v[151:152]
	;; [unrolled: 1-line block ×4, first 2 shown]
	v_add_f64_e64 v[153:154], v[90:91], -v[86:87]
	v_add_f64_e64 v[155:156], v[86:87], -v[90:91]
	s_wait_alu 0xfffe
	v_fma_f64 v[145:146], v[130:131], s[14:15], v[161:162]
	v_fma_f64 v[147:148], v[128:129], s[14:15], v[163:164]
	;; [unrolled: 1-line block ×8, first 2 shown]
	v_add_f64_e64 v[128:129], v[100:101], -v[116:117]
	v_add_f64_e64 v[130:131], v[88:89], -v[84:85]
	;; [unrolled: 1-line block ×6, first 2 shown]
	v_add_f64_e32 v[116:117], v[169:170], v[116:117]
	v_add_f64_e32 v[118:119], v[175:176], v[118:119]
	;; [unrolled: 1-line block ×4, first 2 shown]
	v_fma_f64 v[108:109], v[171:172], s[10:11], v[104:105]
	v_fma_f64 v[104:105], v[171:172], s[2:3], v[104:105]
	v_fma_f64 v[110:111], v[173:174], s[2:3], v[80:81]
	v_fma_f64 v[80:81], v[173:174], s[10:11], v[80:81]
	v_fma_f64 v[157:158], v[177:178], s[2:3], v[106:107]
	v_fma_f64 v[106:107], v[177:178], s[10:11], v[106:107]
	v_fma_f64 v[159:160], v[179:180], s[10:11], v[82:83]
	v_fma_f64 v[82:83], v[179:180], s[2:3], v[82:83]
	v_fma_f64 v[145:146], v[141:142], s[18:19], v[145:146]
	v_fma_f64 v[147:148], v[143:144], s[18:19], v[147:148]
	v_fma_f64 v[149:150], v[139:140], s[18:19], v[149:150]
	v_fma_f64 v[151:152], v[137:138], s[18:19], v[151:152]
	v_fma_f64 v[126:127], v[137:138], s[18:19], v[126:127]
	v_fma_f64 v[124:125], v[139:140], s[18:19], v[124:125]
	v_fma_f64 v[122:123], v[143:144], s[18:19], v[122:123]
	v_fma_f64 v[120:121], v[141:142], s[18:19], v[120:121]
	v_add_f64_e32 v[128:129], v[128:129], v[130:131]
	v_add_f64_e32 v[100:101], v[100:101], v[133:134]
	;; [unrolled: 1-line block ×6, first 2 shown]
	v_fma_f64 v[108:109], v[173:174], s[16:17], v[108:109]
	v_fma_f64 v[104:105], v[173:174], s[14:15], v[104:105]
	;; [unrolled: 1-line block ×8, first 2 shown]
	v_mul_f64_e32 v[116:117], s[16:17], v[145:146]
	v_mul_f64_e32 v[118:119], s[10:11], v[147:148]
	v_mul_f64_e32 v[133:134], s[18:19], v[149:150]
	v_mul_f64_e32 v[135:136], s[20:21], v[151:152]
	v_mul_f64_e32 v[137:138], s[14:15], v[126:127]
	v_mul_f64_e32 v[139:140], s[2:3], v[124:125]
	v_mul_f64_e32 v[141:142], s[18:19], v[122:123]
	v_mul_f64_e32 v[143:144], s[20:21], v[120:121]
	v_add_f64_e32 v[84:85], v[84:85], v[88:89]
	v_add_f64_e32 v[86:87], v[86:87], v[90:91]
	;; [unrolled: 1-line block ×4, first 2 shown]
	v_fma_f64 v[92:93], v[128:129], s[18:19], v[108:109]
	v_fma_f64 v[94:95], v[128:129], s[18:19], v[104:105]
	;; [unrolled: 1-line block ×10, first 2 shown]
	v_fma_f64 v[122:123], v[122:123], s[10:11], -v[133:134]
	v_fma_f64 v[120:121], v[120:121], s[16:17], -v[135:136]
	v_fma_f64 v[124:125], v[145:146], s[20:21], v[137:138]
	v_fma_f64 v[126:127], v[147:148], s[18:19], v[139:140]
	v_fma_f64 v[133:134], v[149:150], s[2:3], -v[141:142]
	v_fma_f64 v[135:136], v[151:152], s[14:15], -v[143:144]
	v_add_f64_e32 v[80:81], v[84:85], v[88:89]
	v_add_f64_e32 v[82:83], v[86:87], v[90:91]
	v_add_f64_e64 v[96:97], v[84:85], -v[88:89]
	v_add_f64_e64 v[98:99], v[86:87], -v[90:91]
	v_add_f64_e32 v[100:101], v[92:93], v[104:105]
	v_add_f64_e32 v[108:109], v[128:129], v[106:107]
	;; [unrolled: 1-line block ×8, first 2 shown]
	v_add_f64_e64 v[104:105], v[92:93], -v[104:105]
	v_add_f64_e64 v[92:93], v[128:129], -v[106:107]
	;; [unrolled: 1-line block ×8, first 2 shown]
	ds_store_b128 v254, v[80:83]
	ds_store_b128 v254, v[100:103] offset:624
	ds_store_b128 v254, v[108:111] offset:1248
	;; [unrolled: 1-line block ×9, first 2 shown]
	global_wb scope:SCOPE_SE
	s_wait_storecnt_dscnt 0x0
	s_barrier_signal -1
	s_barrier_wait -1
	global_inv scope:SCOPE_SE
	s_and_saveexec_b32 s1, vcc_lo
	s_cbranch_execz .LBB0_13
; %bb.12:
	global_load_b128 v[120:123], v253, s[8:9] offset:6240
	s_add_nc_u64 s[2:3], s[8:9], 0x1860
	s_clause 0x3
	global_load_b128 v[124:127], v253, s[2:3] offset:480
	global_load_b128 v[128:131], v253, s[2:3] offset:960
	;; [unrolled: 1-line block ×4, first 2 shown]
	ds_load_b128 v[141:144], v254
	ds_load_b128 v[145:148], v254 offset:480
	ds_load_b128 v[149:152], v254 offset:960
	s_wait_loadcnt_dscnt 0x301
	v_mul_f64_e32 v[157:158], v[147:148], v[126:127]
	v_mul_f64_e32 v[153:154], v[143:144], v[122:123]
	;; [unrolled: 1-line block ×4, first 2 shown]
	s_delay_alu instid0(VALU_DEP_4) | instskip(NEXT) | instid1(VALU_DEP_4)
	v_fma_f64 v[145:146], v[145:146], v[124:125], -v[157:158]
	v_fma_f64 v[141:142], v[141:142], v[120:121], -v[153:154]
	s_delay_alu instid0(VALU_DEP_4)
	v_fma_f64 v[143:144], v[143:144], v[120:121], v[122:123]
	ds_load_b128 v[120:123], v254 offset:1440
	global_load_b128 v[153:156], v253, s[2:3] offset:2400
	v_fma_f64 v[147:148], v[147:148], v[124:125], v[126:127]
	s_wait_loadcnt_dscnt 0x301
	v_mul_f64_e32 v[124:125], v[151:152], v[130:131]
	v_mul_f64_e32 v[126:127], v[149:150], v[130:131]
	s_wait_loadcnt_dscnt 0x200
	v_mul_f64_e32 v[157:158], v[122:123], v[135:136]
	v_mul_f64_e32 v[135:136], v[120:121], v[135:136]
	s_delay_alu instid0(VALU_DEP_4) | instskip(NEXT) | instid1(VALU_DEP_4)
	v_fma_f64 v[124:125], v[149:150], v[128:129], -v[124:125]
	v_fma_f64 v[126:127], v[151:152], v[128:129], v[126:127]
	ds_load_b128 v[128:131], v254 offset:1920
	ds_load_b128 v[149:152], v254 offset:2400
	v_fma_f64 v[120:121], v[120:121], v[133:134], -v[157:158]
	v_fma_f64 v[122:123], v[122:123], v[133:134], v[135:136]
	global_load_b128 v[133:136], v253, s[2:3] offset:2880
	s_wait_loadcnt_dscnt 0x201
	v_mul_f64_e32 v[157:158], v[130:131], v[139:140]
	v_mul_f64_e32 v[139:140], v[128:129], v[139:140]
	s_delay_alu instid0(VALU_DEP_2) | instskip(NEXT) | instid1(VALU_DEP_2)
	v_fma_f64 v[128:129], v[128:129], v[137:138], -v[157:158]
	v_fma_f64 v[130:131], v[130:131], v[137:138], v[139:140]
	global_load_b128 v[137:140], v253, s[2:3] offset:3360
	s_wait_loadcnt_dscnt 0x200
	v_mul_f64_e32 v[157:158], v[151:152], v[155:156]
	v_mul_f64_e32 v[155:156], v[149:150], v[155:156]
	s_delay_alu instid0(VALU_DEP_2) | instskip(NEXT) | instid1(VALU_DEP_2)
	v_fma_f64 v[149:150], v[149:150], v[153:154], -v[157:158]
	v_fma_f64 v[151:152], v[151:152], v[153:154], v[155:156]
	ds_load_b128 v[153:156], v254 offset:2880
	ds_load_b128 v[157:160], v254 offset:3360
	s_wait_loadcnt_dscnt 0x101
	v_mul_f64_e32 v[161:162], v[155:156], v[135:136]
	v_mul_f64_e32 v[135:136], v[153:154], v[135:136]
	s_delay_alu instid0(VALU_DEP_2) | instskip(NEXT) | instid1(VALU_DEP_2)
	v_fma_f64 v[153:154], v[153:154], v[133:134], -v[161:162]
	v_fma_f64 v[155:156], v[155:156], v[133:134], v[135:136]
	s_wait_loadcnt_dscnt 0x0
	v_mul_f64_e32 v[133:134], v[159:160], v[139:140]
	v_mul_f64_e32 v[135:136], v[157:158], v[139:140]
	s_delay_alu instid0(VALU_DEP_2) | instskip(NEXT) | instid1(VALU_DEP_2)
	v_fma_f64 v[133:134], v[157:158], v[137:138], -v[133:134]
	v_fma_f64 v[135:136], v[159:160], v[137:138], v[135:136]
	s_clause 0x1
	global_load_b128 v[137:140], v253, s[2:3] offset:3840
	global_load_b128 v[157:160], v253, s[2:3] offset:4320
	ds_load_b128 v[161:164], v254 offset:3840
	ds_load_b128 v[165:168], v254 offset:4320
	s_wait_loadcnt_dscnt 0x101
	v_mul_f64_e32 v[169:170], v[163:164], v[139:140]
	v_mul_f64_e32 v[139:140], v[161:162], v[139:140]
	s_delay_alu instid0(VALU_DEP_2) | instskip(NEXT) | instid1(VALU_DEP_2)
	v_fma_f64 v[161:162], v[161:162], v[137:138], -v[169:170]
	v_fma_f64 v[163:164], v[163:164], v[137:138], v[139:140]
	s_wait_loadcnt_dscnt 0x0
	v_mul_f64_e32 v[137:138], v[167:168], v[159:160]
	v_mul_f64_e32 v[139:140], v[165:166], v[159:160]
	s_delay_alu instid0(VALU_DEP_2) | instskip(NEXT) | instid1(VALU_DEP_2)
	v_fma_f64 v[137:138], v[165:166], v[157:158], -v[137:138]
	v_fma_f64 v[139:140], v[167:168], v[157:158], v[139:140]
	s_clause 0x1
	global_load_b128 v[157:160], v253, s[2:3] offset:4800
	global_load_b128 v[165:168], v253, s[2:3] offset:5280
	ds_load_b128 v[169:172], v254 offset:4800
	ds_load_b128 v[173:176], v254 offset:5280
	s_wait_loadcnt_dscnt 0x101
	v_mul_f64_e32 v[177:178], v[171:172], v[159:160]
	v_mul_f64_e32 v[159:160], v[169:170], v[159:160]
	s_delay_alu instid0(VALU_DEP_2) | instskip(NEXT) | instid1(VALU_DEP_2)
	v_fma_f64 v[169:170], v[169:170], v[157:158], -v[177:178]
	v_fma_f64 v[171:172], v[171:172], v[157:158], v[159:160]
	s_wait_loadcnt_dscnt 0x0
	v_mul_f64_e32 v[157:158], v[175:176], v[167:168]
	v_mul_f64_e32 v[159:160], v[173:174], v[167:168]
	s_delay_alu instid0(VALU_DEP_2) | instskip(NEXT) | instid1(VALU_DEP_2)
	v_fma_f64 v[157:158], v[173:174], v[165:166], -v[157:158]
	v_fma_f64 v[159:160], v[175:176], v[165:166], v[159:160]
	global_load_b128 v[165:168], v253, s[2:3] offset:5760
	ds_load_b128 v[173:176], v254 offset:5760
	s_wait_loadcnt_dscnt 0x0
	v_mul_f64_e32 v[177:178], v[175:176], v[167:168]
	v_mul_f64_e32 v[167:168], v[173:174], v[167:168]
	s_delay_alu instid0(VALU_DEP_2) | instskip(NEXT) | instid1(VALU_DEP_2)
	v_fma_f64 v[173:174], v[173:174], v[165:166], -v[177:178]
	v_fma_f64 v[175:176], v[175:176], v[165:166], v[167:168]
	ds_store_b128 v254, v[141:144]
	ds_store_b128 v254, v[145:148] offset:480
	ds_store_b128 v254, v[124:127] offset:960
	;; [unrolled: 1-line block ×12, first 2 shown]
.LBB0_13:
	s_wait_alu 0xfffe
	s_or_b32 exec_lo, exec_lo, s1
	global_wb scope:SCOPE_SE
	s_wait_dscnt 0x0
	s_barrier_signal -1
	s_barrier_wait -1
	global_inv scope:SCOPE_SE
	s_and_saveexec_b32 s1, vcc_lo
	s_cbranch_execz .LBB0_15
; %bb.14:
	ds_load_b128 v[80:83], v254
	ds_load_b128 v[100:103], v254 offset:480
	ds_load_b128 v[108:111], v254 offset:960
	;; [unrolled: 1-line block ×12, first 2 shown]
.LBB0_15:
	s_wait_alu 0xfffe
	s_or_b32 exec_lo, exec_lo, s1
	s_wait_dscnt 0x0
	v_add_f64_e64 v[151:152], v[102:103], -v[2:3]
	s_mov_b32 s10, 0x42a4c3d2
	s_mov_b32 s11, 0xbfea55e2
	v_add_f64_e32 v[149:150], v[100:101], v[0:1]
	v_add_f64_e64 v[135:136], v[110:111], -v[74:75]
	s_mov_b32 s2, 0x1ea71119
	s_mov_b32 s16, 0x2ef20147
	;; [unrolled: 1-line block ×4, first 2 shown]
	v_add_f64_e32 v[133:134], v[108:109], v[72:73]
	v_add_f64_e32 v[189:190], v[102:103], v[2:3]
	s_mov_b32 s14, 0xb2365da1
	s_mov_b32 s15, 0xbfd6b1d8
	v_add_f64_e64 v[191:192], v[100:101], -v[0:1]
	v_add_f64_e32 v[137:138], v[110:111], v[74:75]
	v_add_f64_e64 v[143:144], v[108:109], -v[72:73]
	v_add_f64_e64 v[141:142], v[114:115], -v[78:79]
	s_mov_b32 s20, 0x4bc48dbf
	s_mov_b32 s21, 0xbfcea1e5
	v_add_f64_e32 v[139:140], v[112:113], v[76:77]
	v_add_f64_e32 v[145:146], v[114:115], v[78:79]
	s_mov_b32 s18, 0x93053d00
	s_mov_b32 s19, 0xbfef11f4
	v_add_f64_e64 v[155:156], v[112:113], -v[76:77]
	v_add_f64_e64 v[153:154], v[118:119], -v[86:87]
	s_mov_b32 s28, 0x24c2f84
	s_mov_b32 s29, 0x3fe5384d
	v_add_f64_e32 v[147:148], v[116:117], v[84:85]
	v_add_f64_e32 v[159:160], v[118:119], v[86:87]
	s_mov_b32 s22, 0xd0032e0c
	s_mov_b32 s23, 0xbfe7f3cc
	v_add_f64_e64 v[169:170], v[116:117], -v[84:85]
	v_add_f64_e64 v[167:168], v[98:99], -v[90:91]
	s_mov_b32 s26, 0x66966769
	s_mov_b32 s27, 0xbfefc445
	s_mov_b32 s35, 0x3fefc445
	s_wait_alu 0xfffe
	s_mov_b32 s34, s26
	v_add_f64_e32 v[161:162], v[96:97], v[88:89]
	v_mul_f64_e32 v[120:121], s[10:11], v[151:152]
	v_add_f64_e32 v[165:166], v[98:99], v[90:91]
	s_mov_b32 s24, 0xebaa3ed8
	s_mov_b32 s25, 0x3fbedb7d
	v_mul_f64_e32 v[163:164], s[16:17], v[135:136]
	v_add_f64_e64 v[175:176], v[96:97], -v[88:89]
	v_add_f64_e64 v[177:178], v[106:107], -v[94:95]
	s_mov_b32 s45, 0x3fddbe06
	s_mov_b32 s44, 0x4267c47c
	v_add_f64_e32 v[171:172], v[104:105], v[92:93]
	v_mul_f64_e32 v[193:194], s[2:3], v[189:190]
	v_add_f64_e32 v[173:174], v[106:107], v[94:95]
	s_mov_b32 s30, 0xe00740e9
	s_mov_b32 s31, 0x3fec55a7
	v_mul_f64_e32 v[181:182], s[14:15], v[137:138]
	v_add_f64_e64 v[179:180], v[104:105], -v[92:93]
	v_mul_f64_e32 v[183:184], s[20:21], v[141:142]
	v_mul_f64_e32 v[245:246], s[26:27], v[151:152]
	;; [unrolled: 1-line block ×3, first 2 shown]
	s_wait_alu 0xfffe
	v_mul_f64_e32 v[247:248], s[24:25], v[189:190]
	v_mul_f64_e32 v[185:186], s[18:19], v[145:146]
	;; [unrolled: 1-line block ×3, first 2 shown]
	s_mov_b32 s41, 0x3fedeba7
	s_mov_b32 s40, s16
	v_mul_f64_e32 v[187:188], s[28:29], v[153:154]
	s_wait_alu 0xfffe
	v_mul_f64_e32 v[211:212], s[40:41], v[141:142]
	v_mul_f64_e32 v[221:222], s[14:15], v[145:146]
	;; [unrolled: 1-line block ×5, first 2 shown]
	s_mov_b32 s37, 0xbfe5384d
	s_mov_b32 s36, s28
	v_mul_f64_e32 v[195:196], s[34:35], v[167:168]
	v_mul_f64_e32 v[215:216], s[10:11], v[167:168]
	;; [unrolled: 1-line block ×6, first 2 shown]
	scratch_store_b64 off, v[120:121], off offset:28 ; 8-byte Folded Spill
	v_fma_f64 v[120:121], v[149:150], s[2:3], -v[120:121]
	v_mul_f64_e32 v[201:202], s[24:25], v[165:166]
	v_mul_f64_e32 v[223:224], s[2:3], v[165:166]
	v_fma_f64 v[122:123], v[133:134], s[14:15], -v[163:164]
	v_mul_f64_e32 v[239:240], s[30:31], v[145:146]
	v_mul_f64_e32 v[199:200], s[44:45], v[177:178]
	s_wait_alu 0xfffe
	v_mul_f64_e32 v[217:218], s[36:37], v[177:178]
	v_mul_f64_e32 v[237:238], s[24:25], v[159:160]
	s_mov_b32 s39, 0x3fcea1e5
	s_mov_b32 s38, s20
	v_mul_f64_e32 v[207:208], s[30:31], v[173:174]
	v_mul_f64_e32 v[225:226], s[22:23], v[173:174]
	;; [unrolled: 1-line block ×3, first 2 shown]
	v_fma_f64 v[124:125], v[143:144], s[16:17], v[181:182]
	s_mov_b32 s43, 0x3fea55e2
	s_mov_b32 s42, s10
	global_wb scope:SCOPE_SE
	s_wait_storecnt 0x0
	v_fma_f64 v[126:127], v[133:134], s[18:19], -v[203:204]
	s_barrier_signal -1
	s_barrier_wait -1
	v_fma_f64 v[128:129], v[143:144], s[20:21], v[205:206]
	global_inv scope:SCOPE_SE
	v_fma_f64 v[130:131], v[133:134], s[22:23], -v[209:210]
	v_fma_f64 v[229:230], v[143:144], s[28:29], v[227:228]
	v_add_f64_e32 v[120:121], v[80:81], v[120:121]
	s_delay_alu instid0(VALU_DEP_1) | instskip(SKIP_1) | instid1(VALU_DEP_1)
	v_add_f64_e32 v[120:121], v[122:123], v[120:121]
	v_fma_f64 v[122:123], v[191:192], s[10:11], v[193:194]
	v_add_f64_e32 v[122:123], v[82:83], v[122:123]
	s_delay_alu instid0(VALU_DEP_1) | instskip(SKIP_1) | instid1(VALU_DEP_1)
	v_add_f64_e32 v[122:123], v[124:125], v[122:123]
	v_fma_f64 v[124:125], v[139:140], s[18:19], -v[183:184]
	v_add_f64_e32 v[120:121], v[124:125], v[120:121]
	v_fma_f64 v[124:125], v[155:156], s[20:21], v[185:186]
	s_delay_alu instid0(VALU_DEP_1) | instskip(SKIP_1) | instid1(VALU_DEP_1)
	v_add_f64_e32 v[122:123], v[124:125], v[122:123]
	v_fma_f64 v[124:125], v[147:148], s[22:23], -v[187:188]
	v_add_f64_e32 v[120:121], v[124:125], v[120:121]
	v_fma_f64 v[124:125], v[169:170], s[28:29], v[197:198]
	;; [unrolled: 5-line block ×4, first 2 shown]
	s_delay_alu instid0(VALU_DEP_1) | instskip(SKIP_1) | instid1(VALU_DEP_1)
	v_add_f64_e32 v[122:123], v[124:125], v[122:123]
	v_fma_f64 v[124:125], v[149:150], s[24:25], -v[245:246]
	v_add_f64_e32 v[124:125], v[80:81], v[124:125]
	s_delay_alu instid0(VALU_DEP_1) | instskip(SKIP_1) | instid1(VALU_DEP_1)
	v_add_f64_e32 v[124:125], v[126:127], v[124:125]
	v_fma_f64 v[126:127], v[191:192], s[26:27], v[247:248]
	v_add_f64_e32 v[126:127], v[82:83], v[126:127]
	s_delay_alu instid0(VALU_DEP_1) | instskip(SKIP_1) | instid1(VALU_DEP_1)
	v_add_f64_e32 v[126:127], v[128:129], v[126:127]
	v_fma_f64 v[128:129], v[139:140], s[14:15], -v[211:212]
	v_add_f64_e32 v[124:125], v[128:129], v[124:125]
	v_fma_f64 v[128:129], v[155:156], s[40:41], v[221:222]
	s_delay_alu instid0(VALU_DEP_1) | instskip(SKIP_1) | instid1(VALU_DEP_1)
	v_add_f64_e32 v[126:127], v[128:129], v[126:127]
	v_fma_f64 v[128:129], v[147:148], s[30:31], -v[213:214]
	v_add_f64_e32 v[124:125], v[128:129], v[124:125]
	v_fma_f64 v[128:129], v[169:170], s[44:45], v[219:220]
	;; [unrolled: 5-line block ×4, first 2 shown]
	s_delay_alu instid0(VALU_DEP_1) | instskip(SKIP_1) | instid1(VALU_DEP_1)
	v_add_f64_e32 v[126:127], v[128:129], v[126:127]
	v_fma_f64 v[128:129], v[149:150], s[14:15], -v[249:250]
	v_add_f64_e32 v[128:129], v[80:81], v[128:129]
	s_delay_alu instid0(VALU_DEP_1) | instskip(SKIP_1) | instid1(VALU_DEP_1)
	v_add_f64_e32 v[128:129], v[130:131], v[128:129]
	v_fma_f64 v[130:131], v[191:192], s[16:17], v[251:252]
	v_add_f64_e32 v[130:131], v[82:83], v[130:131]
	s_delay_alu instid0(VALU_DEP_1) | instskip(SKIP_1) | instid1(VALU_DEP_1)
	v_add_f64_e32 v[130:131], v[229:230], v[130:131]
	v_mul_f64_e32 v[229:230], s[44:45], v[141:142]
	v_fma_f64 v[231:232], v[139:140], s[30:31], -v[229:230]
	s_delay_alu instid0(VALU_DEP_1) | instskip(SKIP_1) | instid1(VALU_DEP_1)
	v_add_f64_e32 v[128:129], v[231:232], v[128:129]
	v_fma_f64 v[231:232], v[155:156], s[44:45], v[239:240]
	v_add_f64_e32 v[130:131], v[231:232], v[130:131]
	v_mul_f64_e32 v[231:232], s[26:27], v[153:154]
	s_delay_alu instid0(VALU_DEP_1) | instskip(NEXT) | instid1(VALU_DEP_1)
	v_fma_f64 v[233:234], v[147:148], s[24:25], -v[231:232]
	v_add_f64_e32 v[128:129], v[233:234], v[128:129]
	v_fma_f64 v[233:234], v[169:170], s[26:27], v[237:238]
	s_delay_alu instid0(VALU_DEP_1) | instskip(SKIP_2) | instid1(VALU_DEP_1)
	v_add_f64_e32 v[130:131], v[233:234], v[130:131]
	s_wait_alu 0xfffe
	v_mul_f64_e32 v[233:234], s[38:39], v[167:168]
	v_fma_f64 v[235:236], v[161:162], s[18:19], -v[233:234]
	s_delay_alu instid0(VALU_DEP_1) | instskip(SKIP_1) | instid1(VALU_DEP_1)
	v_add_f64_e32 v[128:129], v[235:236], v[128:129]
	v_fma_f64 v[235:236], v[175:176], s[38:39], v[241:242]
	v_add_f64_e32 v[130:131], v[235:236], v[130:131]
	v_mul_f64_e32 v[235:236], s[42:43], v[177:178]
	s_delay_alu instid0(VALU_DEP_1) | instskip(NEXT) | instid1(VALU_DEP_1)
	v_fma_f64 v[243:244], v[171:172], s[2:3], -v[235:236]
	v_add_f64_e32 v[128:129], v[243:244], v[128:129]
	v_mul_f64_e32 v[243:244], s[2:3], v[173:174]
	s_delay_alu instid0(VALU_DEP_1) | instskip(NEXT) | instid1(VALU_DEP_1)
	v_fma_f64 v[157:158], v[179:180], s[42:43], v[243:244]
	v_add_f64_e32 v[130:131], v[157:158], v[130:131]
	s_and_saveexec_b32 s1, vcc_lo
	s_cbranch_execz .LBB0_17
; %bb.16:
	v_add_f64_e32 v[100:101], v[80:81], v[100:101]
	v_add_f64_e32 v[102:103], v[82:83], v[102:103]
	s_delay_alu instid0(VALU_DEP_2) | instskip(NEXT) | instid1(VALU_DEP_2)
	v_add_f64_e32 v[100:101], v[100:101], v[108:109]
	v_add_f64_e32 v[102:103], v[102:103], v[110:111]
	s_delay_alu instid0(VALU_DEP_2) | instskip(NEXT) | instid1(VALU_DEP_2)
	v_add_f64_e32 v[100:101], v[100:101], v[112:113]
	v_add_f64_e32 v[102:103], v[102:103], v[114:115]
	v_mul_f64_e32 v[114:115], s[20:21], v[151:152]
	s_delay_alu instid0(VALU_DEP_3) | instskip(NEXT) | instid1(VALU_DEP_3)
	v_add_f64_e32 v[100:101], v[100:101], v[116:117]
	v_add_f64_e32 v[102:103], v[102:103], v[118:119]
	v_mul_f64_e32 v[116:117], s[36:37], v[151:152]
	s_delay_alu instid0(VALU_DEP_3) | instskip(NEXT) | instid1(VALU_DEP_3)
	v_add_f64_e32 v[96:97], v[100:101], v[96:97]
	v_add_f64_e32 v[98:99], v[102:103], v[98:99]
	v_mul_f64_e32 v[102:103], s[20:21], v[191:192]
	v_mul_f64_e32 v[100:101], s[44:45], v[167:168]
	v_fma_f64 v[157:158], v[149:150], s[22:23], -v[116:117]
	v_fma_f64 v[116:117], v[149:150], s[22:23], v[116:117]
	v_add_f64_e32 v[96:97], v[96:97], v[104:105]
	v_add_f64_e32 v[98:99], v[98:99], v[106:107]
	v_mul_f64_e32 v[104:105], s[36:37], v[191:192]
	v_fma_f64 v[108:109], v[189:190], s[18:19], v[102:103]
	v_fma_f64 v[102:103], v[189:190], s[18:19], -v[102:103]
	v_add_f64_e32 v[116:117], v[80:81], v[116:117]
	v_add_f64_e32 v[92:93], v[96:97], v[92:93]
	v_add_f64_e32 v[94:95], v[98:99], v[94:95]
	v_mul_f64_e32 v[96:97], s[44:45], v[135:136]
	v_mul_f64_e32 v[98:99], s[44:45], v[175:176]
	v_fma_f64 v[110:111], v[189:190], s[22:23], v[104:105]
	v_fma_f64 v[104:105], v[189:190], s[22:23], -v[104:105]
	v_add_f64_e32 v[108:109], v[82:83], v[108:109]
	v_add_f64_e32 v[102:103], v[82:83], v[102:103]
	;; [unrolled: 1-line block ×4, first 2 shown]
	v_mul_f64_e32 v[92:93], s[44:45], v[179:180]
	v_mul_f64_e32 v[94:95], s[44:45], v[143:144]
	v_add_f64_e32 v[110:111], v[82:83], v[110:111]
	v_add_f64_e32 v[104:105], v[82:83], v[104:105]
	;; [unrolled: 1-line block ×3, first 2 shown]
	scratch_load_b64 v[88:89], off, off offset:28 th:TH_LOAD_LU ; 8-byte Folded Reload
	v_add_f64_e32 v[86:87], v[90:91], v[86:87]
	v_mul_f64_e32 v[90:91], s[44:45], v[169:170]
	v_add_f64_e64 v[92:93], v[207:208], -v[92:93]
	v_add_f64_e32 v[76:77], v[84:85], v[76:77]
	v_mul_f64_e32 v[84:85], s[10:11], v[191:192]
	v_add_f64_e32 v[78:79], v[86:87], v[78:79]
	v_mul_f64_e32 v[86:87], s[2:3], v[149:150]
	v_add_f64_e64 v[90:91], v[219:220], -v[90:91]
	v_add_f64_e32 v[72:73], v[76:77], v[72:73]
	v_mul_f64_e32 v[76:77], s[26:27], v[191:192]
	;; [unrolled: 5-line block ×3, first 2 shown]
	v_add_f64_e64 v[76:77], v[247:248], -v[76:77]
	v_add_f64_e32 v[2:3], v[74:75], v[2:3]
	v_mul_f64_e32 v[74:75], s[14:15], v[149:150]
	v_add_f64_e32 v[78:79], v[78:79], v[245:246]
	v_add_f64_e32 v[84:85], v[82:83], v[84:85]
	v_add_f64_e64 v[72:73], v[251:252], -v[72:73]
	v_add_f64_e32 v[193:194], v[82:83], v[76:77]
	v_mul_f64_e32 v[76:77], s[36:37], v[155:156]
	v_add_f64_e32 v[74:75], v[74:75], v[249:250]
	v_add_f64_e32 v[245:246], v[80:81], v[78:79]
	v_mul_f64_e32 v[249:250], s[34:35], v[179:180]
	v_mul_f64_e32 v[251:252], s[34:35], v[177:178]
	v_fma_f64 v[78:79], v[145:146], s[22:23], v[76:77]
	v_fma_f64 v[76:77], v[145:146], s[22:23], -v[76:77]
	s_wait_loadcnt 0x0
	v_add_f64_e32 v[86:87], v[86:87], v[88:89]
	v_mul_f64_e32 v[88:89], s[44:45], v[155:156]
	s_mov_b32 s45, 0xbfddbe06
	s_wait_alu 0xfffe
	v_mul_f64_e32 v[106:107], s[44:45], v[191:192]
	v_mul_f64_e32 v[118:119], s[44:45], v[151:152]
	v_fma_f64 v[151:152], v[149:150], s[18:19], -v[114:115]
	v_fma_f64 v[114:115], v[149:150], s[18:19], v[114:115]
	v_add_f64_e32 v[191:192], v[80:81], v[74:75]
	v_fma_f64 v[74:75], v[133:134], s[30:31], -v[96:97]
	v_fma_f64 v[96:97], v[133:134], s[30:31], v[96:97]
	v_add_f64_e32 v[86:87], v[80:81], v[86:87]
	v_add_f64_e64 v[88:89], v[239:240], -v[88:89]
	v_fma_f64 v[112:113], v[189:190], s[30:31], v[106:107]
	v_fma_f64 v[106:107], v[189:190], s[30:31], -v[106:107]
	v_fma_f64 v[189:190], v[149:150], s[30:31], -v[118:119]
	v_fma_f64 v[118:119], v[149:150], s[30:31], v[118:119]
	v_add_f64_e32 v[149:150], v[80:81], v[151:152]
	v_add_f64_e32 v[151:152], v[80:81], v[157:158]
	;; [unrolled: 1-line block ×3, first 2 shown]
	v_fma_f64 v[72:73], v[137:138], s[30:31], v[94:95]
	v_add_f64_e32 v[114:115], v[80:81], v[114:115]
	v_fma_f64 v[94:95], v[137:138], s[30:31], -v[94:95]
	v_add_f64_e32 v[112:113], v[82:83], v[112:113]
	v_add_f64_e32 v[106:107], v[82:83], v[106:107]
	;; [unrolled: 1-line block ×8, first 2 shown]
	v_mul_f64_e32 v[102:103], s[28:29], v[169:170]
	v_mul_f64_e32 v[114:115], s[18:19], v[161:162]
	v_add_f64_e32 v[72:73], v[78:79], v[72:73]
	v_mul_f64_e32 v[78:79], s[36:37], v[141:142]
	v_add_f64_e32 v[76:77], v[76:77], v[94:95]
	v_mul_f64_e32 v[94:95], s[20:21], v[155:156]
	v_add_f64_e64 v[102:103], v[197:198], -v[102:103]
	v_add_f64_e32 v[114:115], v[114:115], v[233:234]
	v_fma_f64 v[80:81], v[139:140], s[22:23], -v[78:79]
	v_fma_f64 v[78:79], v[139:140], s[22:23], v[78:79]
	v_add_f64_e64 v[94:95], v[185:186], -v[94:95]
	s_delay_alu instid0(VALU_DEP_3) | instskip(SKIP_1) | instid1(VALU_DEP_4)
	v_add_f64_e32 v[74:75], v[80:81], v[74:75]
	v_mul_f64_e32 v[80:81], s[42:43], v[169:170]
	v_add_f64_e32 v[78:79], v[78:79], v[96:97]
	v_mul_f64_e32 v[96:97], s[18:19], v[139:140]
	s_delay_alu instid0(VALU_DEP_3) | instskip(SKIP_1) | instid1(VALU_DEP_3)
	v_fma_f64 v[82:83], v[159:160], s[2:3], v[80:81]
	v_fma_f64 v[80:81], v[159:160], s[2:3], -v[80:81]
	v_add_f64_e32 v[96:97], v[96:97], v[183:184]
	s_delay_alu instid0(VALU_DEP_3) | instskip(SKIP_1) | instid1(VALU_DEP_4)
	v_add_f64_e32 v[72:73], v[82:83], v[72:73]
	v_mul_f64_e32 v[82:83], s[42:43], v[153:154]
	v_add_f64_e32 v[76:77], v[80:81], v[76:77]
	s_delay_alu instid0(VALU_DEP_2) | instskip(SKIP_2) | instid1(VALU_DEP_3)
	v_fma_f64 v[108:109], v[147:148], s[2:3], -v[82:83]
	v_fma_f64 v[80:81], v[147:148], s[2:3], v[82:83]
	v_fma_f64 v[82:83], v[171:172], s[24:25], v[251:252]
	v_add_f64_e32 v[74:75], v[108:109], v[74:75]
	v_mul_f64_e32 v[108:109], s[16:17], v[175:176]
	s_delay_alu instid0(VALU_DEP_4) | instskip(NEXT) | instid1(VALU_DEP_2)
	v_add_f64_e32 v[78:79], v[80:81], v[78:79]
	v_fma_f64 v[149:150], v[165:166], s[14:15], v[108:109]
	v_fma_f64 v[80:81], v[165:166], s[14:15], -v[108:109]
	v_mul_f64_e32 v[108:109], s[22:23], v[147:148]
	s_delay_alu instid0(VALU_DEP_3) | instskip(SKIP_1) | instid1(VALU_DEP_4)
	v_add_f64_e32 v[72:73], v[149:150], v[72:73]
	v_mul_f64_e32 v[149:150], s[16:17], v[167:168]
	v_add_f64_e32 v[76:77], v[80:81], v[76:77]
	s_delay_alu instid0(VALU_DEP_4) | instskip(NEXT) | instid1(VALU_DEP_3)
	v_add_f64_e32 v[108:109], v[108:109], v[187:188]
	v_fma_f64 v[80:81], v[161:162], s[14:15], v[149:150]
	v_fma_f64 v[247:248], v[161:162], s[14:15], -v[149:150]
	s_delay_alu instid0(VALU_DEP_2) | instskip(SKIP_1) | instid1(VALU_DEP_3)
	v_add_f64_e32 v[80:81], v[80:81], v[78:79]
	v_fma_f64 v[78:79], v[173:174], s[24:25], -v[249:250]
	v_add_f64_e32 v[247:248], v[247:248], v[74:75]
	v_fma_f64 v[74:75], v[173:174], s[24:25], v[249:250]
	s_delay_alu instid0(VALU_DEP_3)
	v_add_f64_e32 v[78:79], v[78:79], v[76:77]
	v_add_f64_e32 v[76:77], v[82:83], v[80:81]
	v_mul_f64_e32 v[80:81], s[16:17], v[143:144]
	v_mul_f64_e32 v[82:83], s[14:15], v[133:134]
	v_add_f64_e32 v[74:75], v[74:75], v[72:73]
	v_fma_f64 v[72:73], v[171:172], s[24:25], -v[251:252]
	s_delay_alu instid0(VALU_DEP_4) | instskip(NEXT) | instid1(VALU_DEP_4)
	v_add_f64_e64 v[80:81], v[181:182], -v[80:81]
	v_add_f64_e32 v[82:83], v[82:83], v[163:164]
	v_mul_f64_e32 v[163:164], s[16:17], v[177:178]
	s_delay_alu instid0(VALU_DEP_4) | instskip(NEXT) | instid1(VALU_DEP_4)
	v_add_f64_e32 v[72:73], v[72:73], v[247:248]
	v_add_f64_e32 v[80:81], v[80:81], v[84:85]
	s_delay_alu instid0(VALU_DEP_4) | instskip(SKIP_2) | instid1(VALU_DEP_4)
	v_add_f64_e32 v[82:83], v[82:83], v[86:87]
	v_mul_f64_e32 v[84:85], s[34:35], v[175:176]
	v_mul_f64_e32 v[86:87], s[24:25], v[161:162]
	v_add_f64_e32 v[80:81], v[94:95], v[80:81]
	s_delay_alu instid0(VALU_DEP_4) | instskip(NEXT) | instid1(VALU_DEP_4)
	v_add_f64_e32 v[82:83], v[96:97], v[82:83]
	v_add_f64_e64 v[84:85], v[201:202], -v[84:85]
	s_delay_alu instid0(VALU_DEP_4)
	v_add_f64_e32 v[86:87], v[86:87], v[195:196]
	v_mul_f64_e32 v[94:95], s[30:31], v[171:172]
	v_mul_f64_e32 v[96:97], s[30:31], v[147:148]
	v_add_f64_e32 v[80:81], v[102:103], v[80:81]
	v_add_f64_e32 v[82:83], v[108:109], v[82:83]
	v_mul_f64_e32 v[102:103], s[10:11], v[175:176]
	v_mul_f64_e32 v[108:109], s[2:3], v[161:162]
	v_add_f64_e32 v[94:95], v[94:95], v[199:200]
	v_add_f64_e32 v[96:97], v[96:97], v[213:214]
	;; [unrolled: 1-line block ×4, first 2 shown]
	v_mul_f64_e32 v[86:87], s[20:21], v[143:144]
	v_add_f64_e64 v[102:103], v[223:224], -v[102:103]
	v_add_f64_e32 v[108:109], v[108:109], v[215:216]
	v_add_f64_e32 v[82:83], v[92:93], v[80:81]
	;; [unrolled: 1-line block ×3, first 2 shown]
	v_mul_f64_e32 v[94:95], s[18:19], v[133:134]
	v_mul_f64_e32 v[84:85], s[40:41], v[155:156]
	v_add_f64_e64 v[86:87], v[205:206], -v[86:87]
	v_mul_f64_e32 v[92:93], s[14:15], v[139:140]
	s_delay_alu instid0(VALU_DEP_4) | instskip(NEXT) | instid1(VALU_DEP_4)
	v_add_f64_e32 v[94:95], v[94:95], v[203:204]
	v_add_f64_e64 v[84:85], v[221:222], -v[84:85]
	s_delay_alu instid0(VALU_DEP_4) | instskip(NEXT) | instid1(VALU_DEP_4)
	v_add_f64_e32 v[86:87], v[86:87], v[193:194]
	v_add_f64_e32 v[92:93], v[92:93], v[211:212]
	s_delay_alu instid0(VALU_DEP_4) | instskip(NEXT) | instid1(VALU_DEP_3)
	v_add_f64_e32 v[94:95], v[94:95], v[245:246]
	v_add_f64_e32 v[84:85], v[84:85], v[86:87]
	s_delay_alu instid0(VALU_DEP_2) | instskip(SKIP_1) | instid1(VALU_DEP_3)
	v_add_f64_e32 v[86:87], v[92:93], v[94:95]
	v_mul_f64_e32 v[92:93], s[36:37], v[179:180]
	v_add_f64_e32 v[84:85], v[90:91], v[84:85]
	v_mul_f64_e32 v[90:91], s[22:23], v[171:172]
	s_delay_alu instid0(VALU_DEP_4) | instskip(NEXT) | instid1(VALU_DEP_4)
	v_add_f64_e32 v[86:87], v[96:97], v[86:87]
	v_add_f64_e64 v[92:93], v[225:226], -v[92:93]
	s_delay_alu instid0(VALU_DEP_4) | instskip(NEXT) | instid1(VALU_DEP_4)
	v_add_f64_e32 v[84:85], v[102:103], v[84:85]
	v_add_f64_e32 v[90:91], v[90:91], v[217:218]
	v_mul_f64_e32 v[96:97], s[26:27], v[169:170]
	v_mul_f64_e32 v[102:103], s[24:25], v[147:148]
	v_add_f64_e32 v[94:95], v[108:109], v[86:87]
	v_mul_f64_e32 v[108:109], s[38:39], v[175:176]
	v_add_f64_e32 v[86:87], v[92:93], v[84:85]
	v_mul_f64_e32 v[92:93], s[30:31], v[139:140]
	v_add_f64_e64 v[96:97], v[237:238], -v[96:97]
	v_add_f64_e32 v[102:103], v[102:103], v[231:232]
	v_add_f64_e32 v[84:85], v[90:91], v[94:95]
	v_mul_f64_e32 v[90:91], s[28:29], v[143:144]
	v_mul_f64_e32 v[94:95], s[22:23], v[133:134]
	v_add_f64_e32 v[92:93], v[92:93], v[229:230]
	v_add_f64_e64 v[108:109], v[241:242], -v[108:109]
	s_delay_alu instid0(VALU_DEP_4) | instskip(NEXT) | instid1(VALU_DEP_4)
	v_add_f64_e64 v[90:91], v[227:228], -v[90:91]
	v_add_f64_e32 v[94:95], v[94:95], v[209:210]
	s_delay_alu instid0(VALU_DEP_2) | instskip(NEXT) | instid1(VALU_DEP_2)
	v_add_f64_e32 v[90:91], v[90:91], v[157:158]
	v_add_f64_e32 v[94:95], v[94:95], v[191:192]
	v_mul_f64_e32 v[157:158], s[16:17], v[179:180]
	s_delay_alu instid0(VALU_DEP_3) | instskip(NEXT) | instid1(VALU_DEP_3)
	v_add_f64_e32 v[88:89], v[88:89], v[90:91]
	v_add_f64_e32 v[90:91], v[92:93], v[94:95]
	v_mul_f64_e32 v[92:93], s[42:43], v[179:180]
	v_mul_f64_e32 v[94:95], s[2:3], v[171:172]
	s_delay_alu instid0(VALU_DEP_4) | instskip(NEXT) | instid1(VALU_DEP_4)
	v_add_f64_e32 v[88:89], v[96:97], v[88:89]
	v_add_f64_e32 v[90:91], v[102:103], v[90:91]
	s_delay_alu instid0(VALU_DEP_4) | instskip(NEXT) | instid1(VALU_DEP_4)
	v_add_f64_e64 v[92:93], v[243:244], -v[92:93]
	v_add_f64_e32 v[94:95], v[94:95], v[235:236]
	v_mul_f64_e32 v[102:103], s[34:35], v[135:136]
	v_add_f64_e32 v[88:89], v[108:109], v[88:89]
	v_add_f64_e32 v[96:97], v[114:115], v[90:91]
	s_delay_alu instid0(VALU_DEP_2) | instskip(NEXT) | instid1(VALU_DEP_2)
	v_add_f64_e32 v[90:91], v[92:93], v[88:89]
	v_add_f64_e32 v[88:89], v[94:95], v[96:97]
	v_mul_f64_e32 v[96:97], s[34:35], v[143:144]
	v_fma_f64 v[94:95], v[133:134], s[24:25], v[102:103]
	v_fma_f64 v[102:103], v[133:134], s[24:25], -v[102:103]
	s_delay_alu instid0(VALU_DEP_3) | instskip(NEXT) | instid1(VALU_DEP_3)
	v_fma_f64 v[92:93], v[137:138], s[24:25], -v[96:97]
	v_add_f64_e32 v[94:95], v[94:95], v[116:117]
	v_fma_f64 v[96:97], v[137:138], s[24:25], v[96:97]
	s_delay_alu instid0(VALU_DEP_4) | instskip(NEXT) | instid1(VALU_DEP_4)
	v_add_f64_e32 v[102:103], v[102:103], v[151:152]
	v_add_f64_e32 v[92:93], v[92:93], v[104:105]
	v_mul_f64_e32 v[104:105], s[10:11], v[155:156]
	s_delay_alu instid0(VALU_DEP_4) | instskip(NEXT) | instid1(VALU_DEP_2)
	v_add_f64_e32 v[96:97], v[96:97], v[110:111]
	v_fma_f64 v[108:109], v[145:146], s[2:3], -v[104:105]
	v_fma_f64 v[104:105], v[145:146], s[2:3], v[104:105]
	s_delay_alu instid0(VALU_DEP_2) | instskip(SKIP_1) | instid1(VALU_DEP_3)
	v_add_f64_e32 v[92:93], v[108:109], v[92:93]
	v_mul_f64_e32 v[108:109], s[10:11], v[141:142]
	v_add_f64_e32 v[96:97], v[104:105], v[96:97]
	s_delay_alu instid0(VALU_DEP_2) | instskip(SKIP_2) | instid1(VALU_DEP_3)
	v_fma_f64 v[114:115], v[139:140], s[2:3], v[108:109]
	v_fma_f64 v[104:105], v[139:140], s[2:3], -v[108:109]
	v_mul_f64_e32 v[108:109], s[26:27], v[155:156]
	v_add_f64_e32 v[94:95], v[114:115], v[94:95]
	v_mul_f64_e32 v[114:115], s[38:39], v[169:170]
	s_delay_alu instid0(VALU_DEP_4) | instskip(NEXT) | instid1(VALU_DEP_4)
	v_add_f64_e32 v[102:103], v[104:105], v[102:103]
	v_fma_f64 v[110:111], v[145:146], s[24:25], -v[108:109]
	v_fma_f64 v[108:109], v[145:146], s[24:25], v[108:109]
	s_delay_alu instid0(VALU_DEP_4) | instskip(SKIP_1) | instid1(VALU_DEP_2)
	v_fma_f64 v[116:117], v[159:160], s[18:19], -v[114:115]
	v_fma_f64 v[104:105], v[159:160], s[18:19], v[114:115]
	v_add_f64_e32 v[92:93], v[116:117], v[92:93]
	v_mul_f64_e32 v[116:117], s[38:39], v[153:154]
	s_delay_alu instid0(VALU_DEP_3) | instskip(NEXT) | instid1(VALU_DEP_2)
	v_add_f64_e32 v[96:97], v[104:105], v[96:97]
	v_fma_f64 v[149:150], v[147:148], s[18:19], v[116:117]
	v_fma_f64 v[104:105], v[147:148], s[18:19], -v[116:117]
	s_delay_alu instid0(VALU_DEP_2) | instskip(SKIP_2) | instid1(VALU_DEP_4)
	v_add_f64_e32 v[94:95], v[149:150], v[94:95]
	v_fma_f64 v[149:150], v[165:166], s[30:31], -v[98:99]
	v_fma_f64 v[98:99], v[165:166], s[30:31], v[98:99]
	v_add_f64_e32 v[102:103], v[104:105], v[102:103]
	v_mul_f64_e32 v[104:105], s[10:11], v[143:144]
	v_mul_f64_e32 v[143:144], s[20:21], v[179:180]
	v_add_f64_e32 v[92:93], v[149:150], v[92:93]
	v_add_f64_e32 v[96:97], v[98:99], v[96:97]
	v_fma_f64 v[98:99], v[161:162], s[30:31], -v[100:101]
	v_fma_f64 v[149:150], v[161:162], s[30:31], v[100:101]
	s_delay_alu instid0(VALU_DEP_2) | instskip(SKIP_2) | instid1(VALU_DEP_4)
	v_add_f64_e32 v[100:101], v[98:99], v[102:103]
	v_fma_f64 v[98:99], v[173:174], s[14:15], v[157:158]
	v_fma_f64 v[102:103], v[171:172], s[14:15], -v[163:164]
	v_add_f64_e32 v[149:150], v[149:150], v[94:95]
	v_fma_f64 v[94:95], v[173:174], s[14:15], -v[157:158]
	s_delay_alu instid0(VALU_DEP_4) | instskip(NEXT) | instid1(VALU_DEP_4)
	v_add_f64_e32 v[98:99], v[98:99], v[96:97]
	v_add_f64_e32 v[96:97], v[102:103], v[100:101]
	v_fma_f64 v[100:101], v[137:138], s[2:3], -v[104:105]
	v_fma_f64 v[104:105], v[137:138], s[2:3], v[104:105]
	v_add_f64_e32 v[94:95], v[94:95], v[92:93]
	v_fma_f64 v[92:93], v[171:172], s[14:15], v[163:164]
	s_delay_alu instid0(VALU_DEP_4) | instskip(SKIP_2) | instid1(VALU_DEP_4)
	v_add_f64_e32 v[100:101], v[100:101], v[106:107]
	v_mul_f64_e32 v[106:107], s[10:11], v[135:136]
	v_add_f64_e32 v[104:105], v[104:105], v[112:113]
	v_add_f64_e32 v[92:93], v[92:93], v[149:150]
	v_mul_f64_e32 v[149:150], s[20:21], v[177:178]
	v_add_f64_e32 v[100:101], v[110:111], v[100:101]
	v_fma_f64 v[102:103], v[133:134], s[2:3], v[106:107]
	v_mul_f64_e32 v[110:111], s[26:27], v[141:142]
	v_fma_f64 v[106:107], v[133:134], s[2:3], -v[106:107]
	v_add_f64_e32 v[104:105], v[108:109], v[104:105]
	s_delay_alu instid0(VALU_DEP_4) | instskip(NEXT) | instid1(VALU_DEP_4)
	v_add_f64_e32 v[102:103], v[102:103], v[118:119]
	v_fma_f64 v[114:115], v[139:140], s[24:25], v[110:111]
	v_fma_f64 v[110:111], v[139:140], s[24:25], -v[110:111]
	v_add_f64_e32 v[106:107], v[106:107], v[189:190]
	s_delay_alu instid0(VALU_DEP_3) | instskip(SKIP_1) | instid1(VALU_DEP_3)
	v_add_f64_e32 v[102:103], v[114:115], v[102:103]
	v_mul_f64_e32 v[114:115], s[16:17], v[169:170]
	v_add_f64_e32 v[106:107], v[110:111], v[106:107]
	s_delay_alu instid0(VALU_DEP_2) | instskip(SKIP_1) | instid1(VALU_DEP_2)
	v_fma_f64 v[116:117], v[159:160], s[14:15], -v[114:115]
	v_fma_f64 v[112:113], v[159:160], s[14:15], v[114:115]
	v_add_f64_e32 v[100:101], v[116:117], v[100:101]
	v_mul_f64_e32 v[116:117], s[16:17], v[153:154]
	s_delay_alu instid0(VALU_DEP_3) | instskip(SKIP_1) | instid1(VALU_DEP_3)
	v_add_f64_e32 v[104:105], v[112:113], v[104:105]
	v_fma_f64 v[112:113], v[173:174], s[18:19], v[143:144]
	v_fma_f64 v[118:119], v[147:148], s[14:15], v[116:117]
	v_fma_f64 v[114:115], v[147:148], s[14:15], -v[116:117]
	s_delay_alu instid0(VALU_DEP_2) | instskip(SKIP_1) | instid1(VALU_DEP_3)
	v_add_f64_e32 v[102:103], v[118:119], v[102:103]
	v_mul_f64_e32 v[118:119], s[36:37], v[175:176]
	v_add_f64_e32 v[106:107], v[114:115], v[106:107]
	v_fma_f64 v[114:115], v[171:172], s[18:19], -v[149:150]
	s_delay_alu instid0(VALU_DEP_3) | instskip(SKIP_1) | instid1(VALU_DEP_2)
	v_fma_f64 v[135:136], v[165:166], s[22:23], -v[118:119]
	v_fma_f64 v[108:109], v[165:166], s[22:23], v[118:119]
	v_add_f64_e32 v[100:101], v[135:136], v[100:101]
	v_mul_f64_e32 v[135:136], s[36:37], v[167:168]
	s_delay_alu instid0(VALU_DEP_3) | instskip(NEXT) | instid1(VALU_DEP_2)
	v_add_f64_e32 v[104:105], v[108:109], v[104:105]
	v_fma_f64 v[110:111], v[161:162], s[22:23], -v[135:136]
	v_fma_f64 v[141:142], v[161:162], s[22:23], v[135:136]
	s_delay_alu instid0(VALU_DEP_2) | instskip(NEXT) | instid1(VALU_DEP_4)
	v_add_f64_e32 v[108:109], v[110:111], v[106:107]
	v_add_f64_e32 v[106:107], v[112:113], v[104:105]
	s_delay_alu instid0(VALU_DEP_3) | instskip(SKIP_1) | instid1(VALU_DEP_4)
	v_add_f64_e32 v[141:142], v[141:142], v[102:103]
	v_fma_f64 v[102:103], v[173:174], s[18:19], -v[143:144]
	v_add_f64_e32 v[104:105], v[114:115], v[108:109]
	s_clause 0x1
	scratch_load_b32 v108, off, off offset:24 th:TH_LOAD_LU
	scratch_load_b32 v109, off, off
	v_add_f64_e32 v[102:103], v[102:103], v[100:101]
	v_fma_f64 v[100:101], v[171:172], s[18:19], v[149:150]
	s_delay_alu instid0(VALU_DEP_1) | instskip(SKIP_3) | instid1(VALU_DEP_1)
	v_add_f64_e32 v[100:101], v[100:101], v[141:142]
	s_wait_loadcnt 0x1
	v_and_b32_e32 v108, 0xffff, v108
	s_wait_loadcnt 0x0
	v_lshl_add_u32 v108, v108, 4, v109
	ds_store_b128 v108, v[80:83] offset:32
	ds_store_b128 v108, v[84:87] offset:48
	;; [unrolled: 1-line block ×11, first 2 shown]
	ds_store_b128 v108, v[0:3]
	ds_store_b128 v108, v[104:107] offset:192
.LBB0_17:
	s_wait_alu 0xfffe
	s_or_b32 exec_lo, exec_lo, s1
	global_wb scope:SCOPE_SE
	s_wait_dscnt 0x0
	s_barrier_signal -1
	s_barrier_wait -1
	global_inv scope:SCOPE_SE
	ds_load_b128 v[76:79], v255
	ds_load_b128 v[0:3], v255 offset:624
	ds_load_b128 v[92:95], v255 offset:4160
	;; [unrolled: 1-line block ×8, first 2 shown]
	s_and_saveexec_b32 s1, s0
	s_cbranch_execz .LBB0_19
; %bb.18:
	ds_load_b128 v[128:131], v255 offset:1872
	ds_load_b128 v[124:127], v255 offset:3952
	;; [unrolled: 1-line block ×3, first 2 shown]
.LBB0_19:
	s_wait_alu 0xfffe
	s_or_b32 exec_lo, exec_lo, s1
	s_wait_dscnt 0x4
	v_mul_f64_e32 v[104:105], v[46:47], v[102:103]
	v_mul_f64_e32 v[106:107], v[42:43], v[94:95]
	;; [unrolled: 1-line block ×4, first 2 shown]
	s_wait_dscnt 0x2
	v_mul_f64_e32 v[108:109], v[54:55], v[98:99]
	v_mul_f64_e32 v[110:111], v[50:51], v[82:83]
	;; [unrolled: 1-line block ×4, first 2 shown]
	s_wait_dscnt 0x1
	v_mul_f64_e32 v[112:113], v[34:35], v[86:87]
	s_wait_dscnt 0x0
	v_mul_f64_e32 v[114:115], v[30:31], v[90:91]
	v_mul_f64_e32 v[34:35], v[34:35], v[84:85]
	;; [unrolled: 1-line block ×3, first 2 shown]
	s_mov_b32 s2, 0xe8584caa
	s_mov_b32 s3, 0xbfebb67a
	;; [unrolled: 1-line block ×3, first 2 shown]
	s_wait_alu 0xfffe
	s_mov_b32 s10, s2
	global_wb scope:SCOPE_SE
	s_barrier_signal -1
	s_barrier_wait -1
	global_inv scope:SCOPE_SE
	v_fma_f64 v[100:101], v[44:45], v[100:101], v[104:105]
	v_fma_f64 v[92:93], v[40:41], v[92:93], v[106:107]
	v_fma_f64 v[44:45], v[44:45], v[102:103], -v[46:47]
	v_fma_f64 v[40:41], v[40:41], v[94:95], -v[42:43]
	v_fma_f64 v[42:43], v[52:53], v[96:97], v[108:109]
	v_fma_f64 v[46:47], v[48:49], v[80:81], v[110:111]
	v_fma_f64 v[52:53], v[52:53], v[98:99], -v[54:55]
	v_fma_f64 v[48:49], v[48:49], v[82:83], -v[50:51]
	;; [unrolled: 4-line block ×3, first 2 shown]
	v_add_f64_e32 v[88:89], v[76:77], v[100:101]
	v_add_f64_e32 v[28:29], v[100:101], v[92:93]
	v_add_f64_e64 v[100:101], v[100:101], -v[92:93]
	v_add_f64_e32 v[30:31], v[44:45], v[40:41]
	v_add_f64_e64 v[90:91], v[44:45], -v[40:41]
	v_add_f64_e32 v[80:81], v[42:43], v[46:47]
	v_add_f64_e32 v[96:97], v[2:3], v[52:53]
	;; [unrolled: 1-line block ×3, first 2 shown]
	v_add_f64_e64 v[52:53], v[52:53], -v[48:49]
	v_add_f64_e32 v[44:45], v[78:79], v[44:45]
	v_add_f64_e32 v[94:95], v[0:1], v[42:43]
	v_add_f64_e64 v[104:105], v[42:43], -v[46:47]
	v_add_f64_e32 v[98:99], v[72:73], v[50:51]
	v_add_f64_e32 v[84:85], v[50:51], v[54:55]
	;; [unrolled: 3-line block ×3, first 2 shown]
	v_add_f64_e64 v[106:107], v[32:33], -v[34:35]
	v_fma_f64 v[76:77], v[28:29], -0.5, v[76:77]
	v_fma_f64 v[78:79], v[30:31], -0.5, v[78:79]
	;; [unrolled: 1-line block ×3, first 2 shown]
	v_add_f64_e32 v[30:31], v[96:97], v[48:49]
	v_fma_f64 v[82:83], v[82:83], -0.5, v[2:3]
	v_add_f64_e32 v[0:1], v[88:89], v[92:93]
	v_add_f64_e32 v[2:3], v[44:45], v[40:41]
	;; [unrolled: 1-line block ×4, first 2 shown]
	v_fma_f64 v[84:85], v[84:85], -0.5, v[72:73]
	v_fma_f64 v[86:87], v[86:87], -0.5, v[74:75]
	v_add_f64_e32 v[34:35], v[102:103], v[34:35]
	v_fma_f64 v[40:41], v[90:91], s[2:3], v[76:77]
	s_wait_alu 0xfffe
	v_fma_f64 v[44:45], v[90:91], s[10:11], v[76:77]
	v_fma_f64 v[42:43], v[100:101], s[10:11], v[78:79]
	;; [unrolled: 1-line block ×5, first 2 shown]
	scratch_load_b32 v80, off, off offset:16 th:TH_LOAD_LU ; 4-byte Folded Reload
	v_fma_f64 v[50:51], v[104:105], s[10:11], v[82:83]
	v_fma_f64 v[54:55], v[104:105], s[2:3], v[82:83]
	s_wait_loadcnt 0x0
	ds_store_b128 v80, v[0:3]
	ds_store_b128 v80, v[40:43] offset:208
	ds_store_b128 v80, v[44:47] offset:416
	scratch_load_b32 v0, off, off offset:12 th:TH_LOAD_LU ; 4-byte Folded Reload
	v_fma_f64 v[72:73], v[106:107], s[2:3], v[84:85]
	v_fma_f64 v[74:75], v[108:109], s[10:11], v[86:87]
	;; [unrolled: 1-line block ×4, first 2 shown]
	s_wait_loadcnt 0x0
	ds_store_b128 v0, v[28:31]
	ds_store_b128 v0, v[48:51] offset:208
	ds_store_b128 v0, v[52:55] offset:416
	scratch_load_b32 v0, off, off offset:8 th:TH_LOAD_LU ; 4-byte Folded Reload
	s_wait_loadcnt 0x0
	ds_store_b128 v0, v[32:35]
	ds_store_b128 v0, v[72:75] offset:208
	ds_store_b128 v0, v[76:79] offset:416
	s_and_saveexec_b32 s1, s0
	s_cbranch_execz .LBB0_21
; %bb.20:
	v_mul_f64_e32 v[0:1], v[10:11], v[124:125]
	v_mul_f64_e32 v[2:3], v[6:7], v[120:121]
	v_mul_f64_e32 v[10:11], v[10:11], v[126:127]
	v_mul_f64_e32 v[6:7], v[6:7], v[122:123]
	s_delay_alu instid0(VALU_DEP_4) | instskip(NEXT) | instid1(VALU_DEP_4)
	v_fma_f64 v[0:1], v[8:9], v[126:127], -v[0:1]
	v_fma_f64 v[2:3], v[4:5], v[122:123], -v[2:3]
	s_delay_alu instid0(VALU_DEP_4) | instskip(NEXT) | instid1(VALU_DEP_4)
	v_fma_f64 v[8:9], v[8:9], v[124:125], v[10:11]
	v_fma_f64 v[4:5], v[4:5], v[120:121], v[6:7]
	s_delay_alu instid0(VALU_DEP_4) | instskip(NEXT) | instid1(VALU_DEP_4)
	v_add_f64_e32 v[30:31], v[130:131], v[0:1]
	v_add_f64_e32 v[6:7], v[0:1], v[2:3]
	v_add_f64_e64 v[34:35], v[0:1], -v[2:3]
	s_delay_alu instid0(VALU_DEP_4)
	v_add_f64_e32 v[10:11], v[8:9], v[4:5]
	v_add_f64_e64 v[28:29], v[8:9], -v[4:5]
	v_add_f64_e32 v[8:9], v[128:129], v[8:9]
	v_add_f64_e32 v[2:3], v[30:31], v[2:3]
	v_fma_f64 v[32:33], v[6:7], -0.5, v[130:131]
	v_fma_f64 v[40:41], v[10:11], -0.5, v[128:129]
	s_delay_alu instid0(VALU_DEP_4) | instskip(NEXT) | instid1(VALU_DEP_3)
	v_add_f64_e32 v[0:1], v[8:9], v[4:5]
	v_fma_f64 v[6:7], v[28:29], s[2:3], v[32:33]
	v_fma_f64 v[10:11], v[28:29], s[10:11], v[32:33]
	s_clause 0x1
	scratch_load_b32 v28, off, off th:TH_LOAD_LU
	scratch_load_b32 v29, off, off offset:4 th:TH_LOAD_LU
	v_fma_f64 v[8:9], v[34:35], s[2:3], v[40:41]
	v_fma_f64 v[4:5], v[34:35], s[10:11], v[40:41]
	s_wait_loadcnt 0x0
	v_lshl_add_u32 v28, v29, 4, v28
	ds_store_b128 v28, v[0:3] offset:5616
	ds_store_b128 v28, v[8:11] offset:5824
	;; [unrolled: 1-line block ×3, first 2 shown]
.LBB0_21:
	s_wait_alu 0xfffe
	s_or_b32 exec_lo, exec_lo, s1
	global_wb scope:SCOPE_SE
	s_wait_dscnt 0x0
	s_barrier_signal -1
	s_barrier_wait -1
	global_inv scope:SCOPE_SE
	ds_load_b128 v[0:3], v255 offset:1872
	ds_load_b128 v[4:7], v255 offset:3120
	;; [unrolled: 1-line block ×6, first 2 shown]
	s_mov_b32 s10, 0x134454ff
	s_mov_b32 s11, 0xbfee6f0e
	s_mov_b32 s1, 0x3fee6f0e
	s_wait_alu 0xfffe
	s_mov_b32 s0, s10
	s_mov_b32 s16, 0x4755a5e
	;; [unrolled: 1-line block ×4, first 2 shown]
	s_wait_alu 0xfffe
	s_mov_b32 s2, s16
	s_mov_b32 s14, 0x372fe950
	;; [unrolled: 1-line block ×6, first 2 shown]
	s_wait_alu 0xfffe
	s_mov_b32 s20, s14
	s_mov_b32 s23, 0xbfe9e377
	s_wait_dscnt 0x5
	v_mul_f64_e32 v[44:45], v[58:59], v[0:1]
	s_wait_dscnt 0x4
	v_mul_f64_e32 v[46:47], v[66:67], v[4:5]
	;; [unrolled: 2-line block ×5, first 2 shown]
	v_mul_f64_e32 v[58:59], v[58:59], v[2:3]
	v_mul_f64_e32 v[66:67], v[66:67], v[6:7]
	;; [unrolled: 1-line block ×5, first 2 shown]
	s_mov_b32 s22, s18
	v_fma_f64 v[74:75], v[56:57], v[2:3], -v[44:45]
	v_fma_f64 v[6:7], v[64:65], v[6:7], -v[46:47]
	;; [unrolled: 1-line block ×4, first 2 shown]
	ds_load_b128 v[44:47], v255 offset:2496
	ds_load_b128 v[48:51], v255 offset:3744
	;; [unrolled: 1-line block ×3, first 2 shown]
	s_wait_dscnt 0x3
	v_mul_f64_e32 v[2:3], v[38:39], v[42:43]
	v_mul_f64_e32 v[38:39], v[38:39], v[40:41]
	v_fma_f64 v[56:57], v[56:57], v[0:1], v[58:59]
	v_fma_f64 v[4:5], v[64:65], v[4:5], v[66:67]
	;; [unrolled: 1-line block ×4, first 2 shown]
	v_fma_f64 v[34:35], v[12:13], v[34:35], -v[72:73]
	v_fma_f64 v[12:13], v[12:13], v[32:33], v[14:15]
	s_wait_dscnt 0x2
	v_mul_f64_e32 v[76:77], v[26:27], v[46:47]
	v_mul_f64_e32 v[26:27], v[26:27], v[44:45]
	s_wait_dscnt 0x1
	v_mul_f64_e32 v[78:79], v[22:23], v[50:51]
	s_wait_dscnt 0x0
	v_mul_f64_e32 v[80:81], v[18:19], v[54:55]
	v_mul_f64_e32 v[22:23], v[22:23], v[48:49]
	v_mul_f64_e32 v[18:19], v[18:19], v[52:53]
	v_add_f64_e64 v[60:61], v[74:75], -v[6:7]
	v_add_f64_e32 v[0:1], v[6:7], v[10:11]
	v_add_f64_e32 v[58:59], v[74:75], v[30:31]
	v_add_f64_e64 v[62:63], v[30:31], -v[10:11]
	v_fma_f64 v[40:41], v[36:37], v[40:41], v[2:3]
	v_fma_f64 v[36:37], v[36:37], v[42:43], -v[38:39]
	v_add_f64_e64 v[64:65], v[6:7], -v[74:75]
	v_add_f64_e64 v[66:67], v[10:11], -v[30:31]
	v_add_f64_e32 v[14:15], v[4:5], v[8:9]
	v_add_f64_e64 v[32:33], v[4:5], -v[8:9]
	v_add_f64_e64 v[68:69], v[6:7], -v[10:11]
	;; [unrolled: 1-line block ×5, first 2 shown]
	v_fma_f64 v[38:39], v[24:25], v[44:45], v[76:77]
	v_fma_f64 v[24:25], v[24:25], v[46:47], -v[26:27]
	v_fma_f64 v[26:27], v[20:21], v[48:49], v[78:79]
	v_fma_f64 v[42:43], v[16:17], v[52:53], v[80:81]
	v_fma_f64 v[20:21], v[20:21], v[50:51], -v[22:23]
	v_fma_f64 v[16:17], v[16:17], v[54:55], -v[18:19]
	v_add_f64_e32 v[18:19], v[56:57], v[28:29]
	v_add_f64_e64 v[22:23], v[56:57], -v[28:29]
	v_fma_f64 v[44:45], v[0:1], -0.5, v[34:35]
	v_fma_f64 v[46:47], v[58:59], -0.5, v[34:35]
	v_add_f64_e64 v[58:59], v[74:75], -v[30:31]
	ds_load_b128 v[0:3], v255
	v_add_f64_e32 v[34:35], v[34:35], v[74:75]
	v_fma_f64 v[14:15], v[14:15], -0.5, v[12:13]
	v_add_f64_e64 v[90:91], v[36:37], -v[24:25]
	v_add_f64_e32 v[48:49], v[38:39], v[26:27]
	v_add_f64_e32 v[50:51], v[40:41], v[42:43]
	;; [unrolled: 1-line block ×4, first 2 shown]
	v_fma_f64 v[18:19], v[18:19], -0.5, v[12:13]
	s_wait_dscnt 0x0
	v_add_f64_e32 v[76:77], v[0:1], v[40:41]
	v_add_f64_e32 v[82:83], v[2:3], v[36:37]
	;; [unrolled: 1-line block ×3, first 2 shown]
	v_add_f64_e64 v[78:79], v[36:37], -v[16:17]
	v_add_f64_e64 v[80:81], v[24:25], -v[20:21]
	v_add_f64_e64 v[74:75], v[40:41], -v[42:43]
	v_add_f64_e64 v[56:57], v[4:5], -v[56:57]
	v_add_f64_e64 v[36:37], v[24:25], -v[36:37]
	v_add_f64_e64 v[92:93], v[16:17], -v[20:21]
	v_add_f64_e64 v[94:95], v[20:21], -v[16:17]
	v_fma_f64 v[70:71], v[22:23], s[0:1], v[44:45]
	v_fma_f64 v[72:73], v[32:33], s[10:11], v[46:47]
	;; [unrolled: 1-line block ×4, first 2 shown]
	v_add_f64_e32 v[6:7], v[34:35], v[6:7]
	v_fma_f64 v[48:49], v[48:49], -0.5, v[0:1]
	v_fma_f64 v[0:1], v[50:51], -0.5, v[0:1]
	;; [unrolled: 1-line block ×4, first 2 shown]
	v_add_f64_e32 v[54:55], v[60:61], v[62:63]
	v_add_f64_e32 v[60:61], v[64:65], v[66:67]
	v_fma_f64 v[62:63], v[58:59], s[10:11], v[14:15]
	v_fma_f64 v[64:65], v[68:69], s[0:1], v[18:19]
	;; [unrolled: 1-line block ×3, first 2 shown]
	v_add_f64_e64 v[50:51], v[38:39], -v[26:27]
	v_fma_f64 v[14:15], v[58:59], s[0:1], v[14:15]
	v_add_f64_e32 v[24:25], v[82:83], v[24:25]
	v_add_f64_e32 v[4:5], v[12:13], v[4:5]
	;; [unrolled: 1-line block ×5, first 2 shown]
	v_fma_f64 v[66:67], v[32:33], s[2:3], v[70:71]
	v_fma_f64 v[70:71], v[22:23], s[2:3], v[72:73]
	;; [unrolled: 1-line block ×4, first 2 shown]
	v_add_f64_e64 v[44:45], v[40:41], -v[38:39]
	v_add_f64_e64 v[40:41], v[38:39], -v[40:41]
	v_add_f64_e32 v[38:39], v[76:77], v[38:39]
	v_add_f64_e64 v[46:47], v[42:43], -v[26:27]
	v_add_f64_e64 v[72:73], v[26:27], -v[42:43]
	v_add_f64_e32 v[6:7], v[6:7], v[10:11]
	v_fma_f64 v[34:35], v[78:79], s[10:11], v[48:49]
	v_fma_f64 v[76:77], v[80:81], s[0:1], v[0:1]
	v_fma_f64 v[82:83], v[74:75], s[0:1], v[52:53]
	v_fma_f64 v[52:53], v[74:75], s[10:11], v[52:53]
	v_fma_f64 v[48:49], v[78:79], s[0:1], v[48:49]
	v_fma_f64 v[0:1], v[80:81], s[10:11], v[0:1]
	v_fma_f64 v[62:63], v[68:69], s[16:17], v[62:63]
	v_fma_f64 v[64:65], v[58:59], s[16:17], v[64:65]
	v_fma_f64 v[18:19], v[58:59], s[2:3], v[18:19]
	v_fma_f64 v[84:85], v[50:51], s[10:11], v[2:3]
	v_fma_f64 v[2:3], v[50:51], s[0:1], v[2:3]
	v_fma_f64 v[14:15], v[68:69], s[2:3], v[14:15]
	v_add_f64_e32 v[20:21], v[24:25], v[20:21]
	v_add_f64_e32 v[4:5], v[4:5], v[8:9]
	v_fma_f64 v[58:59], v[54:55], s[14:15], v[66:67]
	v_fma_f64 v[66:67], v[60:61], s[14:15], v[70:71]
	;; [unrolled: 1-line block ×4, first 2 shown]
	v_add_f64_e32 v[26:27], v[38:39], v[26:27]
	v_add_f64_e32 v[44:45], v[44:45], v[46:47]
	;; [unrolled: 1-line block ×5, first 2 shown]
	v_fma_f64 v[8:9], v[80:81], s[16:17], v[34:35]
	v_fma_f64 v[24:25], v[78:79], s[16:17], v[76:77]
	;; [unrolled: 1-line block ×12, first 2 shown]
	v_add_f64_e32 v[16:17], v[20:21], v[16:17]
	v_add_f64_e32 v[4:5], v[4:5], v[28:29]
	v_mul_f64_e32 v[52:53], s[16:17], v[58:59]
	v_mul_f64_e32 v[58:59], s[18:19], v[58:59]
	;; [unrolled: 1-line block ×5, first 2 shown]
	s_wait_alu 0xfffe
	v_mul_f64_e32 v[22:23], s[20:21], v[22:23]
	v_mul_f64_e32 v[60:61], s[16:17], v[32:33]
	;; [unrolled: 1-line block ×3, first 2 shown]
	v_add_f64_e32 v[26:27], v[26:27], v[42:43]
	v_fma_f64 v[28:29], v[44:45], s[14:15], v[8:9]
	v_fma_f64 v[42:43], v[40:41], s[14:15], v[24:25]
	;; [unrolled: 1-line block ×8, first 2 shown]
	v_add_f64_e32 v[2:3], v[16:17], v[6:7]
	v_add_f64_e64 v[6:7], v[16:17], -v[6:7]
	v_fma_f64 v[24:25], v[50:51], s[18:19], v[52:53]
	v_fma_f64 v[50:51], v[50:51], s[2:3], v[58:59]
	;; [unrolled: 1-line block ×8, first 2 shown]
	v_add_f64_e32 v[0:1], v[26:27], v[4:5]
	v_add_f64_e64 v[4:5], v[26:27], -v[4:5]
	v_add_f64_e32 v[8:9], v[28:29], v[24:25]
	v_add_f64_e32 v[10:11], v[34:35], v[50:51]
	;; [unrolled: 1-line block ×8, first 2 shown]
	v_add_f64_e64 v[24:25], v[28:29], -v[24:25]
	v_add_f64_e64 v[26:27], v[34:35], -v[50:51]
	;; [unrolled: 1-line block ×8, first 2 shown]
	ds_store_b128 v254, v[0:3]
	ds_store_b128 v254, v[8:11] offset:624
	ds_store_b128 v254, v[12:15] offset:1248
	;; [unrolled: 1-line block ×9, first 2 shown]
	global_wb scope:SCOPE_SE
	s_wait_dscnt 0x0
	s_barrier_signal -1
	s_barrier_wait -1
	global_inv scope:SCOPE_SE
	s_and_b32 exec_lo, exec_lo, vcc_lo
	s_cbranch_execz .LBB0_23
; %bb.22:
	s_clause 0xb
	global_load_b128 v[0:3], v253, s[8:9]
	global_load_b128 v[4:7], v253, s[8:9] offset:480
	global_load_b128 v[8:11], v253, s[8:9] offset:960
	;; [unrolled: 1-line block ×11, first 2 shown]
	scratch_load_b32 v57, off, off offset:20 th:TH_LOAD_LU ; 4-byte Folded Reload
	v_mad_co_u64_u32 v[80:81], null, s6, v132, 0
	s_mul_u64 s[0:1], s[4:5], 0x1e0
	s_mov_b32 s2, 0x15015015
	s_mov_b32 s3, 0x3f650150
	s_delay_alu instid0(VALU_DEP_1) | instskip(NEXT) | instid1(VALU_DEP_1)
	v_mov_b32_e32 v48, v81
	v_mad_co_u64_u32 v[64:65], null, s7, v132, v[48:49]
	ds_load_b128 v[48:51], v254
	ds_load_b128 v[52:55], v254 offset:480
	v_mov_b32_e32 v81, v64
	s_delay_alu instid0(VALU_DEP_1) | instskip(NEXT) | instid1(VALU_DEP_1)
	v_lshlrev_b64_e32 v[98:99], 4, v[80:81]
	v_add_co_u32 v122, vcc_lo, s12, v98
	s_delay_alu instid0(VALU_DEP_2)
	v_add_co_ci_u32_e32 v123, vcc_lo, s13, v99, vcc_lo
	s_wait_loadcnt_dscnt 0xc01
	v_mul_f64_e32 v[98:99], v[50:51], v[2:3]
	v_mul_f64_e32 v[2:3], v[48:49], v[2:3]
	s_wait_loadcnt_dscnt 0xb00
	v_mul_f64_e32 v[100:101], v[54:55], v[6:7]
	v_mul_f64_e32 v[6:7], v[52:53], v[6:7]
	s_wait_loadcnt 0x0
	v_mad_co_u64_u32 v[96:97], null, s4, v57, 0
	s_delay_alu instid0(VALU_DEP_1) | instskip(NEXT) | instid1(VALU_DEP_1)
	v_mov_b32_e32 v56, v97
	v_mad_co_u64_u32 v[82:83], null, s5, v57, v[56:57]
	ds_load_b128 v[56:59], v254 offset:960
	ds_load_b128 v[60:63], v254 offset:1440
	ds_load_b128 v[64:67], v254 offset:1920
	ds_load_b128 v[68:71], v254 offset:2400
	ds_load_b128 v[72:75], v254 offset:2880
	ds_load_b128 v[76:79], v254 offset:3360
	v_mov_b32_e32 v97, v82
	ds_load_b128 v[80:83], v254 offset:3840
	ds_load_b128 v[84:87], v254 offset:4320
	;; [unrolled: 1-line block ×4, first 2 shown]
	v_lshlrev_b64_e32 v[96:97], 4, v[96:97]
	v_fma_f64 v[48:49], v[48:49], v[0:1], v[98:99]
	v_fma_f64 v[2:3], v[0:1], v[50:51], -v[2:3]
	v_fma_f64 v[50:51], v[52:53], v[4:5], v[100:101]
	v_fma_f64 v[6:7], v[4:5], v[54:55], -v[6:7]
	v_add_co_u32 v96, vcc_lo, v122, v96
	s_wait_dscnt 0x9
	v_mul_f64_e32 v[102:103], v[58:59], v[10:11]
	v_mul_f64_e32 v[10:11], v[56:57], v[10:11]
	s_wait_dscnt 0x8
	v_mul_f64_e32 v[104:105], v[62:63], v[14:15]
	v_mul_f64_e32 v[14:15], v[60:61], v[14:15]
	;; [unrolled: 3-line block ×10, first 2 shown]
	s_wait_alu 0xfffd
	v_add_co_ci_u32_e32 v97, vcc_lo, v123, v97, vcc_lo
	s_wait_alu 0xfffe
	v_add_co_u32 v122, vcc_lo, v96, s0
	s_wait_alu 0xfffd
	s_delay_alu instid0(VALU_DEP_2) | instskip(NEXT) | instid1(VALU_DEP_2)
	v_add_co_ci_u32_e32 v123, vcc_lo, s1, v97, vcc_lo
	v_add_co_u32 v124, vcc_lo, v122, s0
	s_wait_alu 0xfffd
	s_delay_alu instid0(VALU_DEP_2)
	v_add_co_ci_u32_e32 v125, vcc_lo, s1, v123, vcc_lo
	v_mul_f64_e32 v[0:1], s[2:3], v[48:49]
	v_mul_f64_e32 v[2:3], s[2:3], v[2:3]
	;; [unrolled: 1-line block ×4, first 2 shown]
	v_fma_f64 v[52:53], v[56:57], v[8:9], v[102:103]
	v_fma_f64 v[10:11], v[8:9], v[58:59], -v[10:11]
	v_fma_f64 v[54:55], v[60:61], v[12:13], v[104:105]
	v_fma_f64 v[14:15], v[12:13], v[62:63], -v[14:15]
	v_fma_f64 v[56:57], v[64:65], v[16:17], v[106:107]
	v_fma_f64 v[18:19], v[16:17], v[66:67], -v[18:19]
	v_fma_f64 v[58:59], v[68:69], v[20:21], v[108:109]
	v_fma_f64 v[22:23], v[20:21], v[70:71], -v[22:23]
	v_fma_f64 v[60:61], v[72:73], v[24:25], v[110:111]
	v_fma_f64 v[26:27], v[24:25], v[74:75], -v[26:27]
	v_fma_f64 v[62:63], v[76:77], v[28:29], v[112:113]
	v_fma_f64 v[30:31], v[28:29], v[78:79], -v[30:31]
	v_fma_f64 v[64:65], v[80:81], v[32:33], v[114:115]
	v_fma_f64 v[34:35], v[32:33], v[82:83], -v[34:35]
	v_fma_f64 v[66:67], v[84:85], v[36:37], v[116:117]
	v_fma_f64 v[38:39], v[36:37], v[86:87], -v[38:39]
	v_fma_f64 v[68:69], v[88:89], v[40:41], v[118:119]
	v_fma_f64 v[42:43], v[40:41], v[90:91], -v[42:43]
	v_fma_f64 v[70:71], v[92:93], v[44:45], v[120:121]
	v_fma_f64 v[46:47], v[44:45], v[94:95], -v[46:47]
	v_add_co_u32 v72, vcc_lo, v124, s0
	s_wait_alu 0xfffd
	v_add_co_ci_u32_e32 v73, vcc_lo, s1, v125, vcc_lo
	s_delay_alu instid0(VALU_DEP_2) | instskip(SKIP_1) | instid1(VALU_DEP_2)
	v_add_co_u32 v74, vcc_lo, v72, s0
	s_wait_alu 0xfffd
	v_add_co_ci_u32_e32 v75, vcc_lo, s1, v73, vcc_lo
	s_delay_alu instid0(VALU_DEP_2) | instskip(SKIP_1) | instid1(VALU_DEP_2)
	;; [unrolled: 4-line block ×3, first 2 shown]
	v_add_co_u32 v48, vcc_lo, v76, s0
	s_wait_alu 0xfffd
	v_add_co_ci_u32_e32 v49, vcc_lo, s1, v77, vcc_lo
	v_mul_f64_e32 v[8:9], s[2:3], v[52:53]
	v_mul_f64_e32 v[10:11], s[2:3], v[10:11]
	;; [unrolled: 1-line block ×20, first 2 shown]
	v_add_co_u32 v50, vcc_lo, v48, s0
	s_wait_alu 0xfffd
	v_add_co_ci_u32_e32 v51, vcc_lo, s1, v49, vcc_lo
	s_delay_alu instid0(VALU_DEP_2) | instskip(SKIP_1) | instid1(VALU_DEP_2)
	v_add_co_u32 v52, vcc_lo, v50, s0
	s_wait_alu 0xfffd
	v_add_co_ci_u32_e32 v53, vcc_lo, s1, v51, vcc_lo
	s_delay_alu instid0(VALU_DEP_2) | instskip(SKIP_1) | instid1(VALU_DEP_2)
	;; [unrolled: 4-line block ×4, first 2 shown]
	v_add_co_u32 v58, vcc_lo, v56, s0
	s_wait_alu 0xfffd
	v_add_co_ci_u32_e32 v59, vcc_lo, s1, v57, vcc_lo
	s_clause 0x4
	global_store_b128 v[96:97], v[0:3], off
	global_store_b128 v[122:123], v[4:7], off
	;; [unrolled: 1-line block ×12, first 2 shown]
	global_load_b128 v[0:3], v253, s[8:9] offset:5760
	ds_load_b128 v[4:7], v254 offset:5760
	s_wait_loadcnt_dscnt 0x0
	v_mul_f64_e32 v[8:9], v[6:7], v[2:3]
	v_mul_f64_e32 v[2:3], v[4:5], v[2:3]
	s_delay_alu instid0(VALU_DEP_2) | instskip(NEXT) | instid1(VALU_DEP_2)
	v_fma_f64 v[4:5], v[4:5], v[0:1], v[8:9]
	v_fma_f64 v[2:3], v[0:1], v[6:7], -v[2:3]
	s_delay_alu instid0(VALU_DEP_2) | instskip(NEXT) | instid1(VALU_DEP_2)
	v_mul_f64_e32 v[0:1], s[2:3], v[4:5]
	v_mul_f64_e32 v[2:3], s[2:3], v[2:3]
	v_add_co_u32 v4, vcc_lo, v58, s0
	s_wait_alu 0xfffd
	v_add_co_ci_u32_e32 v5, vcc_lo, s1, v59, vcc_lo
	global_store_b128 v[4:5], v[0:3], off
.LBB0_23:
	s_nop 0
	s_sendmsg sendmsg(MSG_DEALLOC_VGPRS)
	s_endpgm
	.section	.rodata,"a",@progbits
	.p2align	6, 0x0
	.amdhsa_kernel bluestein_single_fwd_len390_dim1_dp_op_CI_CI
		.amdhsa_group_segment_fixed_size 18720
		.amdhsa_private_segment_fixed_size 40
		.amdhsa_kernarg_size 104
		.amdhsa_user_sgpr_count 2
		.amdhsa_user_sgpr_dispatch_ptr 0
		.amdhsa_user_sgpr_queue_ptr 0
		.amdhsa_user_sgpr_kernarg_segment_ptr 1
		.amdhsa_user_sgpr_dispatch_id 0
		.amdhsa_user_sgpr_private_segment_size 0
		.amdhsa_wavefront_size32 1
		.amdhsa_uses_dynamic_stack 0
		.amdhsa_enable_private_segment 1
		.amdhsa_system_sgpr_workgroup_id_x 1
		.amdhsa_system_sgpr_workgroup_id_y 0
		.amdhsa_system_sgpr_workgroup_id_z 0
		.amdhsa_system_sgpr_workgroup_info 0
		.amdhsa_system_vgpr_workitem_id 0
		.amdhsa_next_free_vgpr 256
		.amdhsa_next_free_sgpr 48
		.amdhsa_reserve_vcc 1
		.amdhsa_float_round_mode_32 0
		.amdhsa_float_round_mode_16_64 0
		.amdhsa_float_denorm_mode_32 3
		.amdhsa_float_denorm_mode_16_64 3
		.amdhsa_fp16_overflow 0
		.amdhsa_workgroup_processor_mode 1
		.amdhsa_memory_ordered 1
		.amdhsa_forward_progress 0
		.amdhsa_round_robin_scheduling 0
		.amdhsa_exception_fp_ieee_invalid_op 0
		.amdhsa_exception_fp_denorm_src 0
		.amdhsa_exception_fp_ieee_div_zero 0
		.amdhsa_exception_fp_ieee_overflow 0
		.amdhsa_exception_fp_ieee_underflow 0
		.amdhsa_exception_fp_ieee_inexact 0
		.amdhsa_exception_int_div_zero 0
	.end_amdhsa_kernel
	.text
.Lfunc_end0:
	.size	bluestein_single_fwd_len390_dim1_dp_op_CI_CI, .Lfunc_end0-bluestein_single_fwd_len390_dim1_dp_op_CI_CI
                                        ; -- End function
	.section	.AMDGPU.csdata,"",@progbits
; Kernel info:
; codeLenInByte = 15616
; NumSgprs: 50
; NumVgprs: 256
; ScratchSize: 40
; MemoryBound: 0
; FloatMode: 240
; IeeeMode: 1
; LDSByteSize: 18720 bytes/workgroup (compile time only)
; SGPRBlocks: 6
; VGPRBlocks: 31
; NumSGPRsForWavesPerEU: 50
; NumVGPRsForWavesPerEU: 256
; Occupancy: 5
; WaveLimiterHint : 1
; COMPUTE_PGM_RSRC2:SCRATCH_EN: 1
; COMPUTE_PGM_RSRC2:USER_SGPR: 2
; COMPUTE_PGM_RSRC2:TRAP_HANDLER: 0
; COMPUTE_PGM_RSRC2:TGID_X_EN: 1
; COMPUTE_PGM_RSRC2:TGID_Y_EN: 0
; COMPUTE_PGM_RSRC2:TGID_Z_EN: 0
; COMPUTE_PGM_RSRC2:TIDIG_COMP_CNT: 0
	.text
	.p2alignl 7, 3214868480
	.fill 96, 4, 3214868480
	.type	__hip_cuid_89a3a3f7b9f51937,@object ; @__hip_cuid_89a3a3f7b9f51937
	.section	.bss,"aw",@nobits
	.globl	__hip_cuid_89a3a3f7b9f51937
__hip_cuid_89a3a3f7b9f51937:
	.byte	0                               ; 0x0
	.size	__hip_cuid_89a3a3f7b9f51937, 1

	.ident	"AMD clang version 19.0.0git (https://github.com/RadeonOpenCompute/llvm-project roc-6.4.0 25133 c7fe45cf4b819c5991fe208aaa96edf142730f1d)"
	.section	".note.GNU-stack","",@progbits
	.addrsig
	.addrsig_sym __hip_cuid_89a3a3f7b9f51937
	.amdgpu_metadata
---
amdhsa.kernels:
  - .args:
      - .actual_access:  read_only
        .address_space:  global
        .offset:         0
        .size:           8
        .value_kind:     global_buffer
      - .actual_access:  read_only
        .address_space:  global
        .offset:         8
        .size:           8
        .value_kind:     global_buffer
      - .actual_access:  read_only
        .address_space:  global
        .offset:         16
        .size:           8
        .value_kind:     global_buffer
      - .actual_access:  read_only
        .address_space:  global
        .offset:         24
        .size:           8
        .value_kind:     global_buffer
      - .actual_access:  read_only
        .address_space:  global
        .offset:         32
        .size:           8
        .value_kind:     global_buffer
      - .offset:         40
        .size:           8
        .value_kind:     by_value
      - .address_space:  global
        .offset:         48
        .size:           8
        .value_kind:     global_buffer
      - .address_space:  global
        .offset:         56
        .size:           8
        .value_kind:     global_buffer
      - .address_space:  global
        .offset:         64
        .size:           8
        .value_kind:     global_buffer
      - .address_space:  global
        .offset:         72
        .size:           8
        .value_kind:     global_buffer
      - .offset:         80
        .size:           4
        .value_kind:     by_value
      - .address_space:  global
        .offset:         88
        .size:           8
        .value_kind:     global_buffer
      - .address_space:  global
        .offset:         96
        .size:           8
        .value_kind:     global_buffer
    .group_segment_fixed_size: 18720
    .kernarg_segment_align: 8
    .kernarg_segment_size: 104
    .language:       OpenCL C
    .language_version:
      - 2
      - 0
    .max_flat_workgroup_size: 117
    .name:           bluestein_single_fwd_len390_dim1_dp_op_CI_CI
    .private_segment_fixed_size: 40
    .sgpr_count:     50
    .sgpr_spill_count: 0
    .symbol:         bluestein_single_fwd_len390_dim1_dp_op_CI_CI.kd
    .uniform_work_group_size: 1
    .uses_dynamic_stack: false
    .vgpr_count:     256
    .vgpr_spill_count: 9
    .wavefront_size: 32
    .workgroup_processor_mode: 1
amdhsa.target:   amdgcn-amd-amdhsa--gfx1201
amdhsa.version:
  - 1
  - 2
...

	.end_amdgpu_metadata
